;; amdgpu-corpus repo=ROCm/composable_kernel kind=compiled arch=gfx950 opt=O3
	.amdgcn_target "amdgcn-amd-amdhsa--gfx950"
	.amdhsa_code_object_version 6
	.section	.text._ZN2ckL12flush_icacheEv,"axG",@progbits,_ZN2ckL12flush_icacheEv,comdat
	.globl	_ZN2ckL12flush_icacheEv         ; -- Begin function _ZN2ckL12flush_icacheEv
	.p2align	8
	.type	_ZN2ckL12flush_icacheEv,@function
_ZN2ckL12flush_icacheEv:                ; @_ZN2ckL12flush_icacheEv
; %bb.0:
	;;#ASMSTART
	s_icache_inv 
	s_nop 0 
	s_nop 0 
	;; [unrolled: 1-line block ×16, first 2 shown]
	
	;;#ASMEND
	s_endpgm
	.section	.rodata,"a",@progbits
	.p2align	6, 0x0
	.amdhsa_kernel _ZN2ckL12flush_icacheEv
		.amdhsa_group_segment_fixed_size 0
		.amdhsa_private_segment_fixed_size 0
		.amdhsa_kernarg_size 0
		.amdhsa_user_sgpr_count 0
		.amdhsa_user_sgpr_dispatch_ptr 0
		.amdhsa_user_sgpr_queue_ptr 0
		.amdhsa_user_sgpr_kernarg_segment_ptr 0
		.amdhsa_user_sgpr_dispatch_id 0
		.amdhsa_user_sgpr_kernarg_preload_length 0
		.amdhsa_user_sgpr_kernarg_preload_offset 0
		.amdhsa_user_sgpr_private_segment_size 0
		.amdhsa_uses_dynamic_stack 0
		.amdhsa_enable_private_segment 0
		.amdhsa_system_sgpr_workgroup_id_x 1
		.amdhsa_system_sgpr_workgroup_id_y 0
		.amdhsa_system_sgpr_workgroup_id_z 0
		.amdhsa_system_sgpr_workgroup_info 0
		.amdhsa_system_vgpr_workitem_id 0
		.amdhsa_next_free_vgpr 1
		.amdhsa_next_free_sgpr 0
		.amdhsa_accum_offset 4
		.amdhsa_reserve_vcc 0
		.amdhsa_float_round_mode_32 0
		.amdhsa_float_round_mode_16_64 0
		.amdhsa_float_denorm_mode_32 3
		.amdhsa_float_denorm_mode_16_64 3
		.amdhsa_dx10_clamp 1
		.amdhsa_ieee_mode 1
		.amdhsa_fp16_overflow 0
		.amdhsa_tg_split 0
		.amdhsa_exception_fp_ieee_invalid_op 0
		.amdhsa_exception_fp_denorm_src 0
		.amdhsa_exception_fp_ieee_div_zero 0
		.amdhsa_exception_fp_ieee_overflow 0
		.amdhsa_exception_fp_ieee_underflow 0
		.amdhsa_exception_fp_ieee_inexact 0
		.amdhsa_exception_int_div_zero 0
	.end_amdhsa_kernel
	.section	.text._ZN2ckL12flush_icacheEv,"axG",@progbits,_ZN2ckL12flush_icacheEv,comdat
.Lfunc_end0:
	.size	_ZN2ckL12flush_icacheEv, .Lfunc_end0-_ZN2ckL12flush_icacheEv
                                        ; -- End function
	.set _ZN2ckL12flush_icacheEv.num_vgpr, 0
	.set _ZN2ckL12flush_icacheEv.num_agpr, 0
	.set _ZN2ckL12flush_icacheEv.numbered_sgpr, 0
	.set _ZN2ckL12flush_icacheEv.num_named_barrier, 0
	.set _ZN2ckL12flush_icacheEv.private_seg_size, 0
	.set _ZN2ckL12flush_icacheEv.uses_vcc, 0
	.set _ZN2ckL12flush_icacheEv.uses_flat_scratch, 0
	.set _ZN2ckL12flush_icacheEv.has_dyn_sized_stack, 0
	.set _ZN2ckL12flush_icacheEv.has_recursion, 0
	.set _ZN2ckL12flush_icacheEv.has_indirect_call, 0
	.section	.AMDGPU.csdata,"",@progbits
; Kernel info:
; codeLenInByte = 276
; TotalNumSgprs: 6
; NumVgprs: 0
; NumAgprs: 0
; TotalNumVgprs: 0
; ScratchSize: 0
; MemoryBound: 0
; FloatMode: 240
; IeeeMode: 1
; LDSByteSize: 0 bytes/workgroup (compile time only)
; SGPRBlocks: 0
; VGPRBlocks: 0
; NumSGPRsForWavesPerEU: 6
; NumVGPRsForWavesPerEU: 1
; AccumOffset: 4
; Occupancy: 8
; WaveLimiterHint : 0
; COMPUTE_PGM_RSRC2:SCRATCH_EN: 0
; COMPUTE_PGM_RSRC2:USER_SGPR: 0
; COMPUTE_PGM_RSRC2:TRAP_HANDLER: 0
; COMPUTE_PGM_RSRC2:TGID_X_EN: 1
; COMPUTE_PGM_RSRC2:TGID_Y_EN: 0
; COMPUTE_PGM_RSRC2:TGID_Z_EN: 0
; COMPUTE_PGM_RSRC2:TIDIG_COMP_CNT: 0
; COMPUTE_PGM_RSRC3_GFX90A:ACCUM_OFFSET: 0
; COMPUTE_PGM_RSRC3_GFX90A:TG_SPLIT: 0
	.section	.text._ZN2ck27kernel_gemm_xdl_cshuffle_v3INS_28GridwiseGemm_xdl_cshuffle_v3INS_13tensor_layout4gemm8RowMajorENS3_11ColumnMajorES4_DF16_NS_7pk_i4_tEfDF16_DF16_NS_16tensor_operation12element_wise11PassThroughES9_S9_LNS7_6device18GemmSpecializationE0ELi256ELi1ELi128ELi128ELi128ELi64ELi8ELi16ELi16ELi16ELi8ELi2ENS_8SequenceIJLi8ELi32ELi1EEEENSC_IJLi1ELi0ELi2EEEESE_Li2ELi8ELi8ELb0ELi0ENSC_IJLi2ELi128ELi1EEEESE_SE_Li2ELi16ELi16ELb0ELi0ELi1ELi1ENSC_IJLi1ELi16ELi1ELi16EEEELi4ELNS_26BlockGemmPipelineSchedulerE0ELNS_24BlockGemmPipelineVersionE2EDF16_DF16_Lb0ELb1EEELb1ELNS_25InMemoryDataOperationEnumE1ELi2ELNS_10TailNumberE10EEEvNT_8ArgumentE,"axG",@progbits,_ZN2ck27kernel_gemm_xdl_cshuffle_v3INS_28GridwiseGemm_xdl_cshuffle_v3INS_13tensor_layout4gemm8RowMajorENS3_11ColumnMajorES4_DF16_NS_7pk_i4_tEfDF16_DF16_NS_16tensor_operation12element_wise11PassThroughES9_S9_LNS7_6device18GemmSpecializationE0ELi256ELi1ELi128ELi128ELi128ELi64ELi8ELi16ELi16ELi16ELi8ELi2ENS_8SequenceIJLi8ELi32ELi1EEEENSC_IJLi1ELi0ELi2EEEESE_Li2ELi8ELi8ELb0ELi0ENSC_IJLi2ELi128ELi1EEEESE_SE_Li2ELi16ELi16ELb0ELi0ELi1ELi1ENSC_IJLi1ELi16ELi1ELi16EEEELi4ELNS_26BlockGemmPipelineSchedulerE0ELNS_24BlockGemmPipelineVersionE2EDF16_DF16_Lb0ELb1EEELb1ELNS_25InMemoryDataOperationEnumE1ELi2ELNS_10TailNumberE10EEEvNT_8ArgumentE,comdat
	.protected	_ZN2ck27kernel_gemm_xdl_cshuffle_v3INS_28GridwiseGemm_xdl_cshuffle_v3INS_13tensor_layout4gemm8RowMajorENS3_11ColumnMajorES4_DF16_NS_7pk_i4_tEfDF16_DF16_NS_16tensor_operation12element_wise11PassThroughES9_S9_LNS7_6device18GemmSpecializationE0ELi256ELi1ELi128ELi128ELi128ELi64ELi8ELi16ELi16ELi16ELi8ELi2ENS_8SequenceIJLi8ELi32ELi1EEEENSC_IJLi1ELi0ELi2EEEESE_Li2ELi8ELi8ELb0ELi0ENSC_IJLi2ELi128ELi1EEEESE_SE_Li2ELi16ELi16ELb0ELi0ELi1ELi1ENSC_IJLi1ELi16ELi1ELi16EEEELi4ELNS_26BlockGemmPipelineSchedulerE0ELNS_24BlockGemmPipelineVersionE2EDF16_DF16_Lb0ELb1EEELb1ELNS_25InMemoryDataOperationEnumE1ELi2ELNS_10TailNumberE10EEEvNT_8ArgumentE ; -- Begin function _ZN2ck27kernel_gemm_xdl_cshuffle_v3INS_28GridwiseGemm_xdl_cshuffle_v3INS_13tensor_layout4gemm8RowMajorENS3_11ColumnMajorES4_DF16_NS_7pk_i4_tEfDF16_DF16_NS_16tensor_operation12element_wise11PassThroughES9_S9_LNS7_6device18GemmSpecializationE0ELi256ELi1ELi128ELi128ELi128ELi64ELi8ELi16ELi16ELi16ELi8ELi2ENS_8SequenceIJLi8ELi32ELi1EEEENSC_IJLi1ELi0ELi2EEEESE_Li2ELi8ELi8ELb0ELi0ENSC_IJLi2ELi128ELi1EEEESE_SE_Li2ELi16ELi16ELb0ELi0ELi1ELi1ENSC_IJLi1ELi16ELi1ELi16EEEELi4ELNS_26BlockGemmPipelineSchedulerE0ELNS_24BlockGemmPipelineVersionE2EDF16_DF16_Lb0ELb1EEELb1ELNS_25InMemoryDataOperationEnumE1ELi2ELNS_10TailNumberE10EEEvNT_8ArgumentE
	.globl	_ZN2ck27kernel_gemm_xdl_cshuffle_v3INS_28GridwiseGemm_xdl_cshuffle_v3INS_13tensor_layout4gemm8RowMajorENS3_11ColumnMajorES4_DF16_NS_7pk_i4_tEfDF16_DF16_NS_16tensor_operation12element_wise11PassThroughES9_S9_LNS7_6device18GemmSpecializationE0ELi256ELi1ELi128ELi128ELi128ELi64ELi8ELi16ELi16ELi16ELi8ELi2ENS_8SequenceIJLi8ELi32ELi1EEEENSC_IJLi1ELi0ELi2EEEESE_Li2ELi8ELi8ELb0ELi0ENSC_IJLi2ELi128ELi1EEEESE_SE_Li2ELi16ELi16ELb0ELi0ELi1ELi1ENSC_IJLi1ELi16ELi1ELi16EEEELi4ELNS_26BlockGemmPipelineSchedulerE0ELNS_24BlockGemmPipelineVersionE2EDF16_DF16_Lb0ELb1EEELb1ELNS_25InMemoryDataOperationEnumE1ELi2ELNS_10TailNumberE10EEEvNT_8ArgumentE
	.p2align	8
	.type	_ZN2ck27kernel_gemm_xdl_cshuffle_v3INS_28GridwiseGemm_xdl_cshuffle_v3INS_13tensor_layout4gemm8RowMajorENS3_11ColumnMajorES4_DF16_NS_7pk_i4_tEfDF16_DF16_NS_16tensor_operation12element_wise11PassThroughES9_S9_LNS7_6device18GemmSpecializationE0ELi256ELi1ELi128ELi128ELi128ELi64ELi8ELi16ELi16ELi16ELi8ELi2ENS_8SequenceIJLi8ELi32ELi1EEEENSC_IJLi1ELi0ELi2EEEESE_Li2ELi8ELi8ELb0ELi0ENSC_IJLi2ELi128ELi1EEEESE_SE_Li2ELi16ELi16ELb0ELi0ELi1ELi1ENSC_IJLi1ELi16ELi1ELi16EEEELi4ELNS_26BlockGemmPipelineSchedulerE0ELNS_24BlockGemmPipelineVersionE2EDF16_DF16_Lb0ELb1EEELb1ELNS_25InMemoryDataOperationEnumE1ELi2ELNS_10TailNumberE10EEEvNT_8ArgumentE,@function
_ZN2ck27kernel_gemm_xdl_cshuffle_v3INS_28GridwiseGemm_xdl_cshuffle_v3INS_13tensor_layout4gemm8RowMajorENS3_11ColumnMajorES4_DF16_NS_7pk_i4_tEfDF16_DF16_NS_16tensor_operation12element_wise11PassThroughES9_S9_LNS7_6device18GemmSpecializationE0ELi256ELi1ELi128ELi128ELi128ELi64ELi8ELi16ELi16ELi16ELi8ELi2ENS_8SequenceIJLi8ELi32ELi1EEEENSC_IJLi1ELi0ELi2EEEESE_Li2ELi8ELi8ELb0ELi0ENSC_IJLi2ELi128ELi1EEEESE_SE_Li2ELi16ELi16ELb0ELi0ELi1ELi1ENSC_IJLi1ELi16ELi1ELi16EEEELi4ELNS_26BlockGemmPipelineSchedulerE0ELNS_24BlockGemmPipelineVersionE2EDF16_DF16_Lb0ELb1EEELb1ELNS_25InMemoryDataOperationEnumE1ELi2ELNS_10TailNumberE10EEEvNT_8ArgumentE: ; @_ZN2ck27kernel_gemm_xdl_cshuffle_v3INS_28GridwiseGemm_xdl_cshuffle_v3INS_13tensor_layout4gemm8RowMajorENS3_11ColumnMajorES4_DF16_NS_7pk_i4_tEfDF16_DF16_NS_16tensor_operation12element_wise11PassThroughES9_S9_LNS7_6device18GemmSpecializationE0ELi256ELi1ELi128ELi128ELi128ELi64ELi8ELi16ELi16ELi16ELi8ELi2ENS_8SequenceIJLi8ELi32ELi1EEEENSC_IJLi1ELi0ELi2EEEESE_Li2ELi8ELi8ELb0ELi0ENSC_IJLi2ELi128ELi1EEEESE_SE_Li2ELi16ELi16ELb0ELi0ELi1ELi1ENSC_IJLi1ELi16ELi1ELi16EEEELi4ELNS_26BlockGemmPipelineSchedulerE0ELNS_24BlockGemmPipelineVersionE2EDF16_DF16_Lb0ELb1EEELb1ELNS_25InMemoryDataOperationEnumE1ELi2ELNS_10TailNumberE10EEEvNT_8ArgumentE
; %bb.0:
	s_load_dword s12, s[0:1], 0x70
	s_load_dwordx8 s[4:11], s[0:1], 0x10
	s_load_dword s21, s[0:1], 0x40
	s_mov_b64 s[24:25], 0
	s_waitcnt lgkmcnt(0)
	s_lshr_b32 s14, s12, 24
	s_cmp_gt_i32 s11, 1
	s_cselect_b64 s[12:13], -1, 0
	s_bitcmp1_b32 s14, 0
	s_cselect_b64 s[14:15], -1, 0
	s_and_b64 s[12:13], s[12:13], s[14:15]
	s_andn2_b64 vcc, exec, s[12:13]
	s_cbranch_vccnz .LBB1_2
; %bb.1:
	s_mul_i32 s12, s4, s3
	s_mul_i32 s24, s12, s5
	s_ashr_i32 s25, s24, 31
.LBB1_2:
	s_load_dword s20, s[0:1], 0x38
	s_load_dwordx8 s[12:19], s[0:1], 0x50
	s_add_i32 s26, s4, -1
	s_mov_b32 s27, 0
	s_cmpk_lt_u32 s26, 0x80
	s_movk_i32 s28, 0x80
	s_cbranch_scc1 .LBB1_6
; %bb.3:
	s_add_i32 s0, s5, -1
	s_cmpk_lt_u32 s0, 0x80
	s_mov_b32 s0, 0
	s_cbranch_scc1 .LBB1_10
; %bb.4:
	s_add_i32 s0, s4, 0x7f
	s_ashr_i32 s1, s0, 31
	s_lshr_b32 s1, s1, 25
	s_add_i32 s0, s0, s1
	s_ashr_i32 s23, s0, 7
	s_add_i32 s0, s5, 0x7f
	s_ashr_i32 s1, s0, 31
	s_lshr_b32 s1, s1, 25
	s_add_i32 s0, s0, s1
	s_ashr_i32 s22, s0, 7
	s_mul_i32 s0, s22, s23
	s_add_i32 s1, s0, 7
	s_ashr_i32 s29, s1, 31
	s_lshr_b32 s29, s29, 29
	s_add_i32 s1, s1, s29
	s_ashr_i32 s29, s1, 3
	s_and_b32 s1, s1, -8
	s_sub_i32 s30, s0, s1
	s_ashr_i32 s0, s2, 31
	s_lshr_b32 s0, s0, 29
	s_add_i32 s33, s2, s0
	s_and_b32 s0, s33, -8
	s_add_i32 s30, s30, 8
	s_sub_i32 s31, s2, s0
	s_cmp_gt_i32 s31, s30
	s_cbranch_scc1 .LBB1_7
; %bb.5:
	s_mul_i32 s2, s29, s31
	s_ashr_i32 s0, s33, 3
	s_cbranch_execz .LBB1_8
	s_branch .LBB1_9
.LBB1_6:
	s_mov_b32 s29, 0
	s_branch .LBB1_11
.LBB1_7:
                                        ; implicit-def: $sgpr2
	s_ashr_i32 s0, s33, 3
.LBB1_8:
	s_add_i32 s1, s29, -1
	s_mul_i32 s1, s1, s31
	s_add_i32 s2, s30, s1
.LBB1_9:
	s_abs_i32 s1, s22
	v_cvt_f32_u32_e32 v1, s1
	s_sub_i32 s30, 0, s1
	s_add_i32 s0, s2, s0
	s_abs_i32 s29, s0
	v_rcp_iflag_f32_e32 v1, v1
	s_xor_b32 s2, s0, s22
	s_ashr_i32 s2, s2, 31
	v_mul_f32_e32 v1, 0x4f7ffffe, v1
	v_cvt_u32_f32_e32 v1, v1
	s_nop 0
	v_readfirstlane_b32 s31, v1
	s_mul_i32 s30, s30, s31
	s_mul_hi_u32 s30, s31, s30
	s_add_i32 s31, s31, s30
	s_mul_hi_u32 s30, s29, s31
	s_mul_i32 s31, s30, s1
	s_sub_i32 s29, s29, s31
	s_add_i32 s33, s30, 1
	s_sub_i32 s31, s29, s1
	s_cmp_ge_u32 s29, s1
	s_cselect_b32 s30, s33, s30
	s_cselect_b32 s29, s31, s29
	s_add_i32 s31, s30, 1
	s_cmp_ge_u32 s29, s1
	s_cselect_b32 s1, s31, s30
	s_xor_b32 s1, s1, s2
	s_lshr_b32 s29, s23, 30
	s_sub_i32 s1, s1, s2
	s_add_i32 s29, s23, s29
	s_mul_i32 s2, s1, s22
	s_sub_i32 s0, s0, s2
	s_and_b32 s2, s29, -4
	s_sub_i32 s23, s23, s2
	s_cmp_ge_i32 s1, s2
	s_cselect_b32 s2, s23, 4
	s_abs_i32 s29, s2
	v_cvt_f32_u32_e32 v1, s29
	s_ashr_i32 s23, s1, 31
	s_lshr_b32 s23, s23, 30
	s_add_i32 s23, s1, s23
	v_rcp_iflag_f32_e32 v1, v1
	s_and_b32 s23, s23, -4
	s_sub_i32 s23, s1, s23
	s_sub_i32 s31, 0, s29
	v_mul_f32_e32 v1, 0x4f7ffffe, v1
	v_cvt_u32_f32_e32 v1, v1
	s_mul_i32 s22, s23, s22
	s_add_i32 s22, s22, s0
	s_abs_i32 s30, s22
	v_readfirstlane_b32 s33, v1
	s_mul_i32 s31, s31, s33
	s_mul_hi_u32 s31, s33, s31
	s_add_i32 s33, s33, s31
	s_mul_hi_u32 s31, s30, s33
	s_mul_i32 s33, s31, s29
	s_xor_b32 s0, s22, s2
	s_sub_i32 s30, s30, s33
	s_ashr_i32 s0, s0, 31
	s_add_i32 s33, s31, 1
	s_sub_i32 s34, s30, s29
	s_cmp_ge_u32 s30, s29
	s_cselect_b32 s31, s33, s31
	s_cselect_b32 s30, s34, s30
	s_add_i32 s33, s31, 1
	s_cmp_ge_u32 s30, s29
	s_cselect_b32 s29, s33, s31
	s_xor_b32 s29, s29, s0
	s_sub_i32 s0, s29, s0
	s_mul_i32 s2, s0, s2
	s_sub_i32 s2, s22, s2
	s_add_i32 s2, s2, s1
	s_sub_i32 s2, s2, s23
.LBB1_10:
	s_mov_b32 s29, s2
	s_mov_b32 s2, s0
.LBB1_11:
	s_waitcnt lgkmcnt(0)
	s_mul_i32 s0, s20, s3
	s_mul_i32 s1, s0, s5
	s_lshr_b32 s22, s1, 31
	s_add_i32 s1, s1, s22
	s_ashr_i32 s23, s1, 1
	s_ashr_i32 s1, s20, 31
	s_lshr_b32 s1, s1, 25
	s_add_i32 s1, s20, s1
	s_ashr_i32 s1, s1, 7
	s_mul_i32 s22, s1, s3
	s_add_i32 s1, s11, -1
	s_mul_i32 s11, s1, s20
	s_sub_i32 s6, s6, s11
	s_cmp_lt_i32 s3, s1
	s_cselect_b32 s3, s20, s6
	s_ashr_i32 s1, s0, 31
	s_lshl_b64 s[0:1], s[0:1], 1
	s_add_u32 s0, s12, s0
	s_addc_u32 s1, s13, s1
	s_ashr_i32 s6, s23, 31
	s_add_u32 s12, s14, s23
	s_addc_u32 s11, s15, s6
	s_ashr_i32 s23, s22, 31
	s_lshl_b64 s[14:15], s[22:23], 1
	s_add_u32 s20, s18, s14
	s_addc_u32 s18, s19, s15
	s_ashr_i32 s6, s8, 31
	s_lshr_b32 s6, s6, 26
	s_add_i32 s6, s8, s6
	s_ashr_i32 s14, s6, 6
	s_add_i32 s6, s3, 0x7f
	s_ashr_i32 s15, s6, 31
	v_lshrrev_b32_e32 v99, 1, v0
	s_lshr_b32 s15, s15, 25
	v_and_b32_e32 v22, 7, v0
	v_and_b32_e32 v1, 0x7c, v99
	s_add_i32 s6, s6, s15
	s_add_i32 s15, s5, -1
	v_lshl_or_b32 v102, s29, 7, v1
	v_bitop3_b32 v100, v99, v22, 4 bitop3:0x6c
	v_lshlrev_b32_e32 v1, 6, v1
	s_ashr_i32 s6, s6, 7
	s_mul_i32 s15, s10, s15
	v_lshl_or_b32 v24, v100, 3, v1
	v_lshlrev_b32_e32 v1, 1, v0
	s_add_i32 s19, s6, s15
	s_lshl_b32 s6, s2, 7
	v_and_b32_e32 v167, 2, v1
	v_add_u32_e32 v1, s6, v99
	v_lshlrev_b32_e32 v3, 4, v167
	v_lshl_or_b32 v18, v1, 6, v3
	v_lshrrev_b32_e32 v1, 3, v0
	v_bfe_u32 v3, v0, 1, 2
	v_lshlrev_b32_e32 v4, 2, v167
	v_bfe_u32 v26, v0, 3, 4
	v_or_b32_e32 v25, v4, v3
	v_bitop3_b32 v27, v4, v26, v3 bitop3:0x36
	v_lshlrev_b32_e32 v1, 8, v1
	v_lshrrev_b32_e32 v4, 2, v0
	v_lshl_or_b32 v28, v27, 4, v1
	v_and_b32_e32 v1, 15, v0
	v_and_b32_e32 v166, 48, v4
	;; [unrolled: 1-line block ×3, first 2 shown]
	v_or_b32_e32 v4, v166, v1
	v_lshrrev_b32_e32 v29, 3, v3
	v_lshrrev_b32_e32 v3, 2, v3
	v_lshrrev_b32_e32 v5, 2, v4
	v_and_b32_e32 v6, 3, v0
	v_bitop3_b32 v3, v5, v3, v6 bitop3:0x1e
	v_lshlrev_b32_e32 v5, 7, v5
	s_ashr_i32 s2, s21, 31
	v_lshlrev_b32_e32 v98, 3, v22
	v_mul_lo_u32 v103, v102, s7
	v_lshl_or_b32 v169, v3, 3, v5
	s_lshr_b32 s2, s2, 29
	v_or_b32_e32 v3, s6, v4
	s_mul_i32 s13, s26, s7
	s_lshl_b32 s8, s5, 6
	v_add_u32_e32 v2, v103, v98
	v_and_b32_e32 v23, 4, v99
	v_mov_b32_e32 v168, 8
	v_bitop3_b32 v30, v29, v0, 7 bitop3:0x78
	s_add_i32 s21, s21, s2
	v_mul_lo_u32 v170, v3, s10
	s_ashr_i32 s30, s21, 3
	; sched_barrier mask(0x00000000)
	v_add_u32_e32 v10, s7, v2
	s_add_i32 s3, s3, s13
	v_lshlrev_b32_e32 v11, 1, v10
	v_add_u32_e32 v10, s7, v10
	s_lshl_b32 s2, s3, 1
	s_and_b32 s1, s1, 0xffff
	s_mov_b32 s3, 0x20000
	v_lshlrev_b32_e32 v104, 1, v2
	v_lshlrev_b32_e32 v19, 1, v10
	v_add_u32_e32 v31, s7, v10
	v_or_b32_e32 v33, 1, v167
	buffer_load_dwordx4 v[2:5], v104, s[0:3], 0 offen
	buffer_load_dwordx4 v[6:9], v11, s[0:3], 0 offen
	v_lshlrev_b32_e32 v20, 1, v31
	buffer_load_dwordx4 v[10:13], v19, s[0:3], 0 offen
	buffer_load_dwordx4 v[14:17], v20, s[0:3], 0 offen
	v_sub_u32_e32 v19, v33, v167
	s_mul_i32 s13, s5, s14
	v_lshlrev_b32_e32 v34, 4, v19
	v_ashrrev_i32_e32 v32, 1, v18
	s_lshl_b32 s14, s13, 5
	s_and_b32 s13, s11, 0xffff
	s_mov_b32 s15, s3
	v_add_u32_e32 v35, v18, v34
	v_ashrrev_i32_e32 v36, 1, v35
	buffer_load_dwordx2 v[18:19], v32, s[12:15], 0 offen
	buffer_load_dwordx2 v[20:21], v36, s[12:15], 0 offen
	s_lshl_b32 s19, s19, 1
	s_and_b32 s21, s18, 0xffff
	v_lshlrev_b32_e32 v32, 1, v170
	s_mov_b32 s22, s19
	s_mov_b32 s23, s3
	buffer_load_ushort v85, v32, s[20:23], 0 offen
	s_lshl_b32 s10, s10, 7
	v_bitop3_b32 v37, v23, v22, 1 bitop3:0x36
	v_bitop3_b32 v101, v23, v22, 2 bitop3:0x36
	;; [unrolled: 1-line block ×3, first 2 shown]
	v_sub_u32_e32 v26, v167, v33
	v_add_u32_e32 v33, s10, v32
	v_bitop3_b32 v23, v23, v22, 3 bitop3:0x36
	v_sub_u32_e32 v38, v37, v100
	buffer_load_ushort v105, v33, s[20:23], 0 offen
	v_sub_u32_e32 v32, v101, v37
	v_sub_u32_e32 v37, v23, v101
	;; [unrolled: 1-line block ×3, first 2 shown]
	v_lshlrev_b32_e32 v172, 3, v38
	v_lshlrev_b32_e32 v106, 3, v32
	s_mul_i32 s11, s7, -3
	v_lshlrev_b32_e32 v36, 1, v24
	v_sub_u32_e32 v23, v100, v23
	v_lshl_add_u32 v26, v26, 4, s8
	v_lshlrev_b32_e32 v33, 3, v37
	v_lshl_add_u32 v25, v25, 4, v28
	v_add3_u32 v107, v106, v172, 64
	s_movk_i32 s35, 0xffc0
	v_lshrrev_b32_e32 v171, 1, v28
	v_lshl_add_u32 v27, v38, 4, v36
	v_lshlrev_b32_e32 v32, 4, v32
	v_lshlrev_b32_e32 v23, 3, v23
	v_add3_u32 v28, s11, 64, v31
	v_ashrrev_i32_e32 v173, 1, v25
	v_add_u32_e32 v25, v35, v26
	v_add3_u32 v24, v107, v24, v33
	v_lshlrev_b32_e32 v37, 4, v37
	v_add3_u32 v31, v27, s28, v32
	v_lshlrev_b32_e32 v33, 1, v28
	v_add_u32_e32 v28, s7, v28
	v_add3_u32 v174, v24, v23, s35
	v_ashrrev_i32_e32 v24, 1, v25
	v_add_u32_e32 v25, v25, v34
	v_and_b32_e32 v39, 0x7ff8, v171
	v_add3_u32 v32, v31, s28, v37
	v_ashrrev_i32_e32 v34, 1, v25
	buffer_load_dwordx2 v[162:163], v24, s[12:15], 0 offen
	buffer_load_dwordx2 v[164:165], v34, s[12:15], 0 offen
	v_lshlrev_b32_e32 v23, 1, v28
	v_add_u32_e32 v179, v25, v26
	s_mov_b32 s11, 0xe408
	s_movk_i32 s18, 0x2c00
	v_mov_b32_e32 v177, 0xd480
	v_or_b32_e32 v178, 0x800, v169
	s_mov_b32 s34, s14
	s_waitcnt vmcnt(9)
	ds_write_b128 v36, v[2:5]
	s_waitcnt vmcnt(8)
	ds_write_b128 v27, v[6:9] offset:128
	s_waitcnt vmcnt(7)
	ds_write_b128 v31, v[10:13] offset:128
	;; [unrolled: 2-line block ×3, first 2 shown]
	s_waitcnt vmcnt(5)
	ds_write_b64 v39, v[18:19] offset:16384
	s_waitcnt vmcnt(4)
	ds_write_b64 v173, v[20:21] offset:16384
	v_add_u32_e32 v2, s7, v28
	v_lshlrev_b32_e32 v3, 1, v2
	buffer_load_dwordx4 v[34:37], v33, s[0:3], 0 offen
	buffer_load_dwordx4 v[38:41], v23, s[0:3], 0 offen
	v_add_lshl_u32 v2, v2, s7, 1
	buffer_load_dwordx4 v[50:53], v3, s[0:3], 0 offen
	buffer_load_dwordx4 v[54:57], v2, s[0:3], 0 offen
	v_lshlrev_b32_e32 v2, 7, v1
	v_lshl_or_b32 v175, v30, 4, v2
	v_bitop3_b32 v2, v29, v22, 1 bitop3:0x36
	v_sub_u32_e32 v2, v2, v30
	s_waitcnt lgkmcnt(0)
	s_barrier
	v_lshl_add_u32 v176, v2, 4, v175
	ds_read_b128 v[78:81], v175
	ds_read_b128 v[62:65], v175 offset:2048
	ds_read_b128 v[70:73], v176
	ds_read_b128 v[58:61], v176 offset:2048
	ds_read_b128 v[46:49], v175 offset:4096
	ds_read_b128 v[26:29], v175 offset:6144
	ds_read_b128 v[42:45], v176 offset:4096
	ds_read_b128 v[30:33], v176 offset:6144
	ds_read_b128 v[18:21], v175 offset:8192
	ds_read_b128 v[6:9], v175 offset:10240
	ds_read_b128 v[22:25], v176 offset:8192
	ds_read_b128 v[74:77], v176 offset:10240
	ds_read2st64_b64 v[94:97], v169 offset0:32 offset1:36
	ds_read_b128 v[10:13], v175 offset:12288
	ds_read_b128 v[66:69], v175 offset:14336
	;; [unrolled: 1-line block ×4, first 2 shown]
	s_waitcnt lgkmcnt(4)
	v_and_b32_e32 v82, 0xf000f, v94
	v_or_b32_e32 v82, 0x64006400, v82
	v_and_b32_e32 v83, 0xf000f0, v94
	v_or_b32_e32 v83, 0x64006400, v83
	v_pk_add_f16 v82, v82, s11 op_sel_hi:[1,0]
	v_pk_fma_f16 v83, v83, s18, v177 op_sel_hi:[1,0,0]
	s_waitcnt vmcnt(7)
	v_pk_mul_f16 v86, v85, v82 op_sel_hi:[0,1]
	v_ashrrev_i32_e32 v82, 8, v94
	v_pk_mul_f16 v87, v85, v83 op_sel_hi:[0,1]
	v_and_b32_e32 v83, 0xf000f, v82
	v_and_b32_e32 v82, 0xf000f0, v82
	v_or_b32_e32 v83, 0x64006400, v83
	v_or_b32_e32 v82, 0x64006400, v82
	v_pk_add_f16 v83, v83, s11 op_sel_hi:[1,0]
	v_pk_fma_f16 v82, v82, s18, v177 op_sel_hi:[1,0,0]
	v_ashrrev_i32_e32 v84, 8, v95
	v_pk_mul_f16 v88, v85, v83 op_sel_hi:[0,1]
	v_pk_mul_f16 v89, v85, v82 op_sel_hi:[0,1]
	v_and_b32_e32 v82, 0xf000f, v95
	v_and_b32_e32 v83, 0xf000f0, v95
	;; [unrolled: 1-line block ×4, first 2 shown]
	v_ashrrev_i32_e32 v92, 8, v96
	v_or_b32_e32 v82, 0x64006400, v82
	v_or_b32_e32 v83, 0x64006400, v83
	;; [unrolled: 1-line block ×4, first 2 shown]
	v_and_b32_e32 v93, 0xf000f, v92
	v_and_b32_e32 v92, 0xf000f0, v92
	v_pk_add_f16 v82, v82, s11 op_sel_hi:[1,0]
	v_pk_fma_f16 v83, v83, s18, v177 op_sel_hi:[1,0,0]
	v_pk_add_f16 v90, v90, s11 op_sel_hi:[1,0]
	v_pk_fma_f16 v91, v84, s18, v177 op_sel_hi:[1,0,0]
	v_or_b32_e32 v93, 0x64006400, v93
	v_or_b32_e32 v92, 0x64006400, v92
	v_pk_mul_f16 v82, v85, v82 op_sel_hi:[0,1]
	v_pk_mul_f16 v83, v85, v83 op_sel_hi:[0,1]
	;; [unrolled: 1-line block ×4, first 2 shown]
	v_and_b32_e32 v90, 0xf000f, v96
	v_and_b32_e32 v91, 0xf000f0, v96
	v_pk_add_f16 v93, v93, s11 op_sel_hi:[1,0]
	v_pk_fma_f16 v94, v92, s18, v177 op_sel_hi:[1,0,0]
	v_ashrrev_i32_e32 v96, 8, v97
	s_waitcnt vmcnt(6)
	v_pk_mul_f16 v92, v105, v93 op_sel_hi:[0,1]
	v_pk_mul_f16 v93, v105, v94 op_sel_hi:[0,1]
	v_and_b32_e32 v94, 0xf000f, v97
	v_and_b32_e32 v95, 0xf000f0, v97
	;; [unrolled: 1-line block ×4, first 2 shown]
	v_or_b32_e32 v90, 0x64006400, v90
	v_or_b32_e32 v91, 0x64006400, v91
	;; [unrolled: 1-line block ×6, first 2 shown]
	v_pk_add_f16 v90, v90, s11 op_sel_hi:[1,0]
	v_pk_fma_f16 v91, v91, s18, v177 op_sel_hi:[1,0,0]
	v_pk_add_f16 v94, v94, s11 op_sel_hi:[1,0]
	v_pk_fma_f16 v95, v95, s18, v177 op_sel_hi:[1,0,0]
	;; [unrolled: 2-line block ×3, first 2 shown]
	v_pk_mul_f16 v90, v105, v90 op_sel_hi:[0,1]
	v_pk_mul_f16 v91, v105, v91 op_sel_hi:[0,1]
	;; [unrolled: 1-line block ×6, first 2 shown]
	; sched_barrier mask(0x00000000)
	v_or_b32_e32 v99, 3, v99
	v_bitop3_b32 v99, v99, 7, v0 bitop3:0x48
	v_sub_u32_e32 v101, v99, v101
	v_lshlrev_b32_e32 v105, 3, v101
	v_sub_u32_e32 v99, v100, v99
	v_lshlrev_b32_e32 v99, 3, v99
	v_add_u32_e32 v100, v107, v105
	v_add3_u32 v180, v100, v99, s35
	v_or_b32_e32 v99, 3, v102
	v_mad_u64_u32 v[100:101], s[14:15], s7, v99, v[98:99]
	v_mov_b32_e32 v99, 0x100
	v_lshl_add_u32 v181, v100, 1, v99
	v_or_b32_e32 v100, 2, v102
	v_mad_u64_u32 v[100:101], s[14:15], s7, v100, v[98:99]
	v_add3_u32 v98, v103, s7, v98
	s_max_i32 s22, s30, 2
	v_lshl_add_u32 v183, v98, 1, v99
	v_mov_b32_e32 v98, 0
	v_lshl_add_u32 v182, v100, 1, v99
	v_add_u32_e32 v184, 0x100, v104
	s_add_i32 s7, s22, -1
	v_lshlrev_b32_e32 v185, 1, v106
	v_lshlrev_b32_e32 v186, 1, v105
	s_mov_b32 s14, s34
	s_mov_b32 s15, s3
	;; [unrolled: 1-line block ×3, first 2 shown]
	v_mov_b32_e32 v99, v98
	v_mov_b32_e32 v100, v98
	;; [unrolled: 1-line block ×63, first 2 shown]
	v_or_b32_e32 v187, 9, v167
	v_mov_b32_e32 v188, 2
.LBB1_12:                               ; =>This Inner Loop Header: Depth=1
	v_lshlrev_b32_e32 v189, 1, v174
	s_waitcnt lgkmcnt(0)
	s_barrier
	s_waitcnt vmcnt(3)
	ds_write_b128 v189, v[34:37]
	v_mfma_f32_16x16x32_f16 v[98:101], v[66:69], v[90:93], v[98:101]
	buffer_load_dwordx4 v[34:37], v184, s[0:3], 0 offen
	v_lshl_add_u32 v189, v172, 1, v189
	v_add_u32_e64 v192, 2, s27
	v_mfma_f32_16x16x32_f16 v[158:161], v[78:81], v[86:89], v[158:161]
	s_waitcnt vmcnt(3)
	ds_write_b128 v189, v[38:41] offset:128
	v_sub_u32_e32 v191, v187, v168
	v_lshrrev_b32_e32 v190, 31, v179
	v_mfma_f32_16x16x32_f16 v[98:101], v[2:5], v[94:97], v[98:101]
	buffer_load_dwordx4 v[38:41], v183, s[0:3], 0 offen
	v_sub_u32_e32 v193, v167, v191
	v_lshlrev_b32_e32 v193, 4, v193
	v_mfma_f32_16x16x32_f16 v[158:161], v[70:73], v[82:85], v[158:161]
	s_andn2_b32 s19, 1, s27
	v_add_u32_e32 v174, v174, v180
	; sched_group_barrier mask(0x00000200) size(1) SyncID(0)
	; sched_group_barrier mask(0x00000008) size(1) SyncID(0)
	; sched_group_barrier mask(0x00000020) size(1) SyncID(0)
	; sched_group_barrier mask(0x00000008) size(1) SyncID(0)
	; sched_group_barrier mask(0x00000200) size(1) SyncID(0)
	; sched_group_barrier mask(0x00000008) size(1) SyncID(0)
	; sched_group_barrier mask(0x00000020) size(1) SyncID(0)
	; sched_group_barrier mask(0x00000008) size(1) SyncID(0)
	v_mfma_f32_16x16x32_f16 v[78:81], v[78:81], v[90:93], v[154:157]
	v_mfma_f32_16x16x32_f16 v[154:157], v[70:73], v[94:97], v[78:81]
	s_nop 6
	v_add3_u32 v79, v189, s28, v185
	s_waitcnt vmcnt(3)
	ds_write_b128 v79, v[50:53] offset:128
	v_mfma_f32_16x16x32_f16 v[70:73], v[62:65], v[86:89], v[150:153]
	v_lshlrev_b32_e32 v78, 1, v170
	v_sub_u32_e32 v81, v191, v167
	v_add_u32_e32 v80, v179, v190
	v_mfma_f32_16x16x32_f16 v[150:153], v[58:61], v[82:85], v[70:73]
	v_add_u32_e32 v170, s19, v170
	s_nop 2
	v_add3_u32 v71, v79, s28, v186
	s_waitcnt vmcnt(2)
	ds_write_b128 v71, v[54:57] offset:128
	v_add_u32_e32 v71, s10, v78
	ds_write_b64 v171, v[162:163] offset:16384
	ds_write_b64 v173, v[164:165] offset:16384
	buffer_load_ushort v194, v71, s[20:23], 0 offen
	buffer_load_dwordx4 v[50:53], v182, s[0:3], 0 offen
	v_mfma_f32_16x16x32_f16 v[62:65], v[62:65], v[90:93], v[146:149]
	buffer_load_ushort v189, v78, s[20:23], 0 offen
	v_sub_u32_e32 v70, v192, v188
	v_add_u32_e64 v188, 3, s27
	v_mfma_f32_16x16x32_f16 v[146:149], v[58:61], v[94:97], v[62:65]
	v_sub_u32_e32 v192, v188, v192
	; sched_group_barrier mask(0x00000200) size(1) SyncID(0)
	; sched_group_barrier mask(0x00000008) size(1) SyncID(0)
	; sched_group_barrier mask(0x00000020) size(1) SyncID(0)
	; sched_group_barrier mask(0x00000008) size(1) SyncID(0)
	; sched_group_barrier mask(0x00000200) size(1) SyncID(0)
	; sched_group_barrier mask(0x00000008) size(1) SyncID(0)
	; sched_group_barrier mask(0x00000020) size(1) SyncID(0)
	; sched_group_barrier mask(0x00000008) size(1) SyncID(0)
	; sched_group_barrier mask(0x00000200) size(1) SyncID(0)
	; sched_group_barrier mask(0x00000008) size(1) SyncID(0)
	; sched_group_barrier mask(0x00000020) size(1) SyncID(0)
	; sched_group_barrier mask(0x00000008) size(1) SyncID(0)
	; sched_group_barrier mask(0x00000200) size(1) SyncID(0)
	v_mfma_f32_16x16x32_f16 v[58:61], v[46:49], v[86:89], v[142:145]
	s_nop 1
	v_mul_lo_u32 v63, v70, s8
	v_lshlrev_b32_e32 v64, 4, v81
	v_add3_u32 v179, v63, v179, v64
	buffer_load_dwordx4 v[54:57], v181, s[0:3], 0 offen
	v_mfma_f32_16x16x32_f16 v[142:145], v[42:45], v[82:85], v[58:61]
	v_ashrrev_i32_e32 v62, 1, v80
	buffer_load_dwordx2 v[162:163], v62, s[12:15], 0 offen
	; sched_group_barrier mask(0x00000008) size(1) SyncID(0)
	; sched_group_barrier mask(0x00000020) size(1) SyncID(0)
	; sched_group_barrier mask(0x00000008) size(1) SyncID(0)
	s_nop 0
	v_lshrrev_b32_e32 v58, 31, v179
	v_add_u32_e32 v58, v179, v58
	v_ashrrev_i32_e32 v58, 1, v58
	buffer_load_dwordx2 v[164:165], v58, s[12:15], 0 offen
	s_waitcnt lgkmcnt(0)
	s_barrier
	ds_read_b128 v[78:81], v175
	v_mfma_f32_16x16x32_f16 v[46:49], v[46:49], v[90:93], v[138:141]
	ds_read_b128 v[70:73], v176
	; sched_group_barrier mask(0x00000100) size(1) SyncID(0)
	; sched_group_barrier mask(0x00000008) size(1) SyncID(0)
	; sched_group_barrier mask(0x00000100) size(1) SyncID(0)
	v_mfma_f32_16x16x32_f16 v[138:141], v[42:45], v[94:97], v[46:49]
	ds_read_b128 v[62:65], v175 offset:2048
	; sched_group_barrier mask(0x00000008) size(1) SyncID(0)
	; sched_group_barrier mask(0x00000100) size(1) SyncID(0)
	v_mfma_f32_16x16x32_f16 v[42:45], v[26:29], v[86:89], v[134:137]
	ds_read_b128 v[58:61], v176 offset:2048
	; sched_group_barrier mask(0x00000008) size(1) SyncID(0)
	; sched_group_barrier mask(0x00000100) size(1) SyncID(0)
	v_mfma_f32_16x16x32_f16 v[134:137], v[30:33], v[82:85], v[42:45]
	s_nop 1
	ds_read_b128 v[46:49], v175 offset:4096
	; sched_group_barrier mask(0x00000008) size(1) SyncID(0)
	; sched_group_barrier mask(0x00000100) size(1) SyncID(0)
	v_mfma_f32_16x16x32_f16 v[26:29], v[26:29], v[90:93], v[130:133]
	s_nop 1
	ds_read_b128 v[42:45], v176 offset:4096
	; sched_group_barrier mask(0x00000008) size(1) SyncID(0)
	; sched_group_barrier mask(0x00000100) size(1) SyncID(0)
	v_mfma_f32_16x16x32_f16 v[130:133], v[30:33], v[94:97], v[26:29]
	ds_read_b128 v[30:33], v176 offset:6144
	; sched_group_barrier mask(0x00000008) size(1) SyncID(0)
	; sched_group_barrier mask(0x00000100) size(1) SyncID(0)
	v_mfma_f32_16x16x32_f16 v[26:29], v[18:21], v[86:89], v[122:125]
	ds_read_b64 v[190:191], v169 offset:16384
	; sched_group_barrier mask(0x00000008) size(1) SyncID(0)
	; sched_group_barrier mask(0x00000100) size(1) SyncID(0)
	s_waitcnt lgkmcnt(0)
	v_and_b32_e32 v195, 0xf000f, v190
	v_mfma_f32_16x16x32_f16 v[122:125], v[22:25], v[82:85], v[26:29]
	v_and_b32_e32 v196, 0xf000f0, v190
	v_ashrrev_i32_e32 v190, 8, v190
	v_and_b32_e32 v197, 0xf000f, v191
	s_nop 0
	ds_read_b128 v[26:29], v175 offset:6144
	v_mfma_f32_16x16x32_f16 v[18:21], v[18:21], v[90:93], v[118:121]
	v_and_b32_e32 v198, 0xf000f0, v191
	v_ashrrev_i32_e32 v191, 8, v191
	v_and_b32_e32 v199, 0xf000f, v190
	v_mfma_f32_16x16x32_f16 v[118:121], v[22:25], v[94:97], v[18:21]
	v_and_b32_e32 v190, 0xf000f0, v190
	v_and_b32_e32 v200, 0xf000f, v191
	;; [unrolled: 1-line block ×3, first 2 shown]
	s_nop 0
	ds_read_b128 v[18:21], v175 offset:8192
	v_mfma_f32_16x16x32_f16 v[114:117], v[6:9], v[86:89], v[114:117]
	ds_read_b128 v[22:25], v176 offset:8192
	v_or_b32_e32 v195, 0x64006400, v195
	v_or_b32_e32 v196, 0x64006400, v196
	v_mfma_f32_16x16x32_f16 v[114:117], v[74:77], v[82:85], v[114:117]
	v_or_b32_e32 v197, 0x64006400, v197
	v_or_b32_e32 v198, 0x64006400, v198
	;; [unrolled: 1-line block ×3, first 2 shown]
	v_mfma_f32_16x16x32_f16 v[110:113], v[6:9], v[90:93], v[110:113]
	ds_read_b128 v[6:9], v175 offset:10240
	v_or_b32_e32 v190, 0x64006400, v190
	v_or_b32_e32 v200, 0x64006400, v200
	v_mfma_f32_16x16x32_f16 v[110:113], v[74:77], v[94:97], v[110:113]
	v_mul_lo_u32 v74, v192, s8
	v_add3_u32 v179, v193, v74, v179
	ds_read_b128 v[74:77], v176 offset:10240
	v_mfma_f32_16x16x32_f16 v[126:129], v[10:13], v[86:89], v[126:129]
	ds_read_b64 v[192:193], v178 offset:16384
	v_or_b32_e32 v191, 0x64006400, v191
	v_pk_add_f16 v195, v195, s11 op_sel_hi:[1,0]
	v_mfma_f32_16x16x32_f16 v[126:129], v[14:17], v[82:85], v[126:129]
	v_pk_fma_f16 v196, v196, s18, v177 op_sel_hi:[1,0,0]
	v_pk_add_f16 v197, v197, s11 op_sel_hi:[1,0]
	v_pk_fma_f16 v198, v198, s18, v177 op_sel_hi:[1,0,0]
	v_mfma_f32_16x16x32_f16 v[66:69], v[66:69], v[86:89], v[106:109]
	s_waitcnt lgkmcnt(0)
	v_and_b32_e32 v86, 0xf000f, v192
	v_ashrrev_i32_e32 v88, 8, v192
	v_or_b32_e32 v86, 0x64006400, v86
	v_and_b32_e32 v106, 0xf000f0, v193
	v_ashrrev_i32_e32 v107, 8, v193
	v_and_b32_e32 v108, 0xf000f, v88
	v_or_b32_e32 v106, 0x64006400, v106
	v_and_b32_e32 v87, 0xf000f0, v192
	v_and_b32_e32 v89, 0xf000f, v193
	;; [unrolled: 1-line block ×4, first 2 shown]
	v_pk_add_f16 v201, v86, s11 op_sel_hi:[1,0]
	v_or_b32_e32 v86, 0x64006400, v108
	v_pk_fma_f16 v204, v106, s18, v177 op_sel_hi:[1,0,0]
	v_mfma_f32_16x16x32_f16 v[106:109], v[2:5], v[82:85], v[66:69]
	v_or_b32_e32 v87, 0x64006400, v87
	v_and_b32_e32 v88, 0xf000f0, v88
	v_or_b32_e32 v89, 0x64006400, v89
	v_mfma_f32_16x16x32_f16 v[66:69], v[10:13], v[90:93], v[102:105]
	ds_read_b128 v[10:13], v175 offset:12288
	ds_read_b128 v[2:5], v176 offset:14336
	v_pk_fma_f16 v202, v87, s18, v177 op_sel_hi:[1,0,0]
	v_mfma_f32_16x16x32_f16 v[102:105], v[14:17], v[94:97], v[66:69]
	ds_read_b128 v[14:17], v176 offset:12288
	v_or_b32_e32 v87, 0x64006400, v88
	v_or_b32_e32 v82, 0x64006400, v192
	s_nop 0
	ds_read_b128 v[66:69], v175 offset:14336
	v_or_b32_e32 v83, 0x64006400, v193
	v_pk_add_f16 v199, v199, s11 op_sel_hi:[1,0]
	v_pk_fma_f16 v190, v190, s18, v177 op_sel_hi:[1,0,0]
	v_pk_add_f16 v200, v200, s11 op_sel_hi:[1,0]
	v_pk_fma_f16 v191, v191, s18, v177 op_sel_hi:[1,0,0]
	v_pk_add_f16 v203, v89, s11 op_sel_hi:[1,0]
	v_pk_add_f16 v92, v86, s11 op_sel_hi:[1,0]
	v_pk_fma_f16 v93, v87, s18, v177 op_sel_hi:[1,0,0]
	v_pk_add_f16 v192, v82, s11 op_sel_hi:[1,0]
	v_pk_fma_f16 v193, v83, s18, v177 op_sel_hi:[1,0,0]
	s_waitcnt vmcnt(3)
	v_pk_mul_f16 v86, v189, v195 op_sel_hi:[0,1]
	v_pk_mul_f16 v87, v189, v196 op_sel_hi:[0,1]
	;; [unrolled: 1-line block ×16, first 2 shown]
	; sched_group_barrier mask(0x00000008) size(1) SyncID(0)
	; sched_group_barrier mask(0x00000100) size(1) SyncID(0)
	; sched_group_barrier mask(0x00000008) size(1) SyncID(0)
	; sched_group_barrier mask(0x00000100) size(1) SyncID(0)
	; sched_group_barrier mask(0x00000008) size(1) SyncID(0)
	; sched_group_barrier mask(0x00000100) size(1) SyncID(0)
	; sched_group_barrier mask(0x00000008) size(1) SyncID(0)
	; sched_group_barrier mask(0x00000100) size(1) SyncID(0)
	; sched_group_barrier mask(0x00000008) size(1) SyncID(0)
	; sched_group_barrier mask(0x00000100) size(1) SyncID(0)
	; sched_group_barrier mask(0x00000008) size(1) SyncID(0)
	; sched_group_barrier mask(0x00000100) size(1) SyncID(0)
	; sched_group_barrier mask(0x00000008) size(1) SyncID(0)
	; sched_group_barrier mask(0x00000100) size(1) SyncID(0)
	; sched_group_barrier mask(0x00000008) size(1) SyncID(0)
	; sched_group_barrier mask(0x00000100) size(1) SyncID(0)
	; sched_group_barrier mask(0x00000008) size(1) SyncID(0)
	; sched_group_barrier mask(0x00000100) size(1) SyncID(0)
	; sched_group_barrier mask(0x00000008) size(1) SyncID(0)
	; sched_group_barrier mask(0x00000100) size(1) SyncID(0)
	; sched_group_barrier mask(0x00000008) size(1) SyncID(0)
	; sched_barrier mask(0x00000000)
	s_add_i32 s27, s27, 1
	v_add_u32_e32 v168, 4, v168
	v_add_u32_e32 v187, 4, v187
	;; [unrolled: 1-line block ×5, first 2 shown]
	s_cmp_lg_u32 s7, s27
	v_add_u32_e32 v184, 0x80, v184
	s_cbranch_scc1 .LBB1_12
; %bb.13:
	v_mfma_f32_16x16x32_f16 v[50:53], v[62:65], v[86:89], v[150:153]
	s_lshl_b64 s[0:1], s[24:25], 1
	s_add_u32 s12, s16, s0
	s_addc_u32 s13, s17, s1
	s_waitcnt vmcnt(2)
	v_mfma_f32_16x16x32_f16 v[54:57], v[62:65], v[90:93], v[146:149]
	s_mul_i32 s0, s26, s9
	s_mul_hi_u32 s1, 0, s9
	s_add_i32 s7, s1, s0
	v_mfma_f32_16x16x32_f16 v[50:53], v[58:61], v[82:85], v[50:53]
	v_mfma_f32_16x16x32_f16 v[54:57], v[58:61], v[94:97], v[54:57]
	;; [unrolled: 1-line block ×21, first 2 shown]
	s_waitcnt lgkmcnt(3)
	v_mfma_f32_16x16x32_f16 v[6:9], v[10:13], v[86:89], v[126:129]
	v_mfma_f32_16x16x32_f16 v[22:25], v[74:77], v[82:85], v[18:21]
	s_waitcnt lgkmcnt(1)
	v_mfma_f32_16x16x32_f16 v[18:21], v[14:17], v[82:85], v[6:9]
	v_mfma_f32_16x16x32_f16 v[6:9], v[10:13], v[90:93], v[102:105]
	;; [unrolled: 1-line block ×3, first 2 shown]
	s_waitcnt lgkmcnt(0)
	v_mfma_f32_16x16x32_f16 v[6:9], v[66:69], v[86:89], v[106:109]
	v_mfma_f32_16x16x32_f16 v[14:17], v[66:69], v[90:93], v[98:101]
	;; [unrolled: 1-line block ×4, first 2 shown]
	; sched_barrier mask(0x00000000)
	s_nop 5
	v_lshlrev_b32_e32 v14, 2, v0
	v_lshrrev_b32_e32 v15, 4, v0
	v_and_b32_e32 v66, 60, v14
	v_or_b32_e32 v14, s6, v66
	v_lshl_or_b32 v67, s29, 7, v15
	v_mad_u64_u32 v[16:17], s[0:1], v67, s9, v[14:15]
	v_lshlrev_b32_e32 v1, 1, v1
	v_cvt_f16_f32_e32 v17, v34
	v_lshl_add_u32 v1, v166, 1, v1
	v_lshlrev_b32_e32 v0, 5, v0
	s_movk_i32 s0, 0x600
	v_and_or_b32 v34, v0, s0, v1
	v_cvt_f16_f32_e32 v0, v35
	v_cvt_f16_f32_e32 v1, v36
	;; [unrolled: 1-line block ×3, first 2 shown]
	s_waitcnt lgkmcnt(0)
	s_barrier
	ds_write_b16 v34, v17
	ds_write_b16 v34, v0 offset:128
	ds_write_b16 v34, v1 offset:256
	;; [unrolled: 1-line block ×3, first 2 shown]
	v_lshlrev_b32_e32 v0, 1, v66
	v_lshl_or_b32 v15, v15, 7, v0
	s_waitcnt lgkmcnt(0)
	s_barrier
	ds_read_b64 v[0:1], v15
	v_cmp_gt_i32_e32 vcc, s5, v14
	v_cmp_gt_i32_e64 s[2:3], s4, v67
	s_add_i32 s0, s5, s7
	s_lshl_b32 s14, s0, 1
	v_bfrev_b32_e32 v17, 1
	s_and_b64 s[0:1], s[2:3], vcc
	v_cndmask_b32_e64 v35, v17, 0, s[0:1]
	s_mov_b32 s15, 0x20000
	v_lshl_add_u32 v35, v16, 1, v35
	s_waitcnt lgkmcnt(0)
	buffer_atomic_pk_add_f16 v0, v35, s[12:15], 0 offen
	buffer_atomic_pk_add_f16 v1, v35, s[12:15], 4 offen
	v_cvt_f16_f32_e32 v0, v38
	v_cvt_f16_f32_e32 v1, v39
	;; [unrolled: 1-line block ×4, first 2 shown]
	v_or_b32_e32 v14, 64, v14
	s_waitcnt lgkmcnt(0)
	s_barrier
	ds_write_b16 v34, v0
	ds_write_b16 v34, v1 offset:128
	ds_write_b16 v34, v36 offset:256
	;; [unrolled: 1-line block ×3, first 2 shown]
	s_waitcnt lgkmcnt(0)
	s_barrier
	ds_read_b64 v[0:1], v15
	v_cmp_gt_i32_e64 s[0:1], s5, v14
	s_and_b64 s[2:3], s[2:3], s[0:1]
	v_add_u32_e32 v35, 64, v16
	v_cndmask_b32_e64 v14, v17, 0, s[2:3]
	v_lshl_add_u32 v14, v35, 1, v14
	s_waitcnt lgkmcnt(0)
	buffer_atomic_pk_add_f16 v0, v14, s[12:15], 0 offen
	buffer_atomic_pk_add_f16 v1, v14, s[12:15], 4 offen
	v_cvt_f16_f32_e32 v0, v54
	v_cvt_f16_f32_e32 v1, v55
	;; [unrolled: 1-line block ×4, first 2 shown]
	v_or_b32_e32 v14, 16, v67
	s_waitcnt lgkmcnt(0)
	s_barrier
	ds_write_b16 v34, v0
	ds_write_b16 v34, v1 offset:128
	ds_write_b16 v34, v36 offset:256
	;; [unrolled: 1-line block ×3, first 2 shown]
	s_waitcnt lgkmcnt(0)
	s_barrier
	ds_read_b64 v[0:1], v15
	v_cmp_gt_i32_e64 s[2:3], s4, v14
	s_lshl_b32 s5, s9, 4
	s_and_b64 s[6:7], s[2:3], s[0:1]
	v_add_u32_e32 v35, s5, v35
	v_cndmask_b32_e64 v14, v17, 0, s[6:7]
	v_lshl_add_u32 v14, v35, 1, v14
	s_waitcnt lgkmcnt(0)
	buffer_atomic_pk_add_f16 v0, v14, s[12:15], 0 offen
	buffer_atomic_pk_add_f16 v1, v14, s[12:15], 4 offen
	v_cvt_f16_f32_e32 v0, v50
	v_cvt_f16_f32_e32 v1, v51
	;; [unrolled: 1-line block ×4, first 2 shown]
	s_waitcnt lgkmcnt(0)
	s_barrier
	ds_write_b16 v34, v0
	ds_write_b16 v34, v1 offset:128
	ds_write_b16 v34, v14 offset:256
	ds_write_b16 v34, v35 offset:384
	s_waitcnt lgkmcnt(0)
	s_barrier
	ds_read_b64 v[0:1], v15
	s_and_b64 s[2:3], vcc, s[2:3]
	v_add_u32_e32 v14, s5, v16
	v_cndmask_b32_e64 v16, v17, 0, s[2:3]
	v_lshl_add_u32 v16, v14, 1, v16
	s_waitcnt lgkmcnt(0)
	buffer_atomic_pk_add_f16 v0, v16, s[12:15], 0 offen
	buffer_atomic_pk_add_f16 v1, v16, s[12:15], 4 offen
	v_cvt_f16_f32_e32 v0, v58
	v_cvt_f16_f32_e32 v1, v59
	;; [unrolled: 1-line block ×4, first 2 shown]
	v_or_b32_e32 v16, 32, v67
	s_waitcnt lgkmcnt(0)
	s_barrier
	ds_write_b16 v34, v0
	ds_write_b16 v34, v1 offset:128
	ds_write_b16 v34, v35 offset:256
	ds_write_b16 v34, v36 offset:384
	s_waitcnt lgkmcnt(0)
	s_barrier
	ds_read_b64 v[0:1], v15
	v_cmp_gt_i32_e64 s[2:3], s4, v16
	s_and_b64 s[6:7], vcc, s[2:3]
	v_add_u32_e32 v14, s5, v14
	v_cndmask_b32_e64 v16, v17, 0, s[6:7]
	v_lshl_add_u32 v16, v14, 1, v16
	s_waitcnt lgkmcnt(0)
	buffer_atomic_pk_add_f16 v0, v16, s[12:15], 0 offen
	buffer_atomic_pk_add_f16 v1, v16, s[12:15], 4 offen
	v_cvt_f16_f32_e32 v0, v42
	v_cvt_f16_f32_e32 v1, v43
	;; [unrolled: 1-line block ×4, first 2 shown]
	s_waitcnt lgkmcnt(0)
	s_barrier
	ds_write_b16 v34, v0
	ds_write_b16 v34, v1 offset:128
	ds_write_b16 v34, v16 offset:256
	;; [unrolled: 1-line block ×3, first 2 shown]
	s_waitcnt lgkmcnt(0)
	s_barrier
	ds_read_b64 v[0:1], v15
	s_and_b64 s[2:3], s[2:3], s[0:1]
	v_add_u32_e32 v16, 64, v14
	v_cndmask_b32_e64 v35, v17, 0, s[2:3]
	v_lshl_add_u32 v35, v16, 1, v35
	s_waitcnt lgkmcnt(0)
	buffer_atomic_pk_add_f16 v0, v35, s[12:15], 0 offen
	buffer_atomic_pk_add_f16 v1, v35, s[12:15], 4 offen
	v_cvt_f16_f32_e32 v0, v62
	v_cvt_f16_f32_e32 v1, v63
	;; [unrolled: 1-line block ×4, first 2 shown]
	v_or_b32_e32 v35, 48, v67
	s_waitcnt lgkmcnt(0)
	s_barrier
	ds_write_b16 v34, v0
	ds_write_b16 v34, v1 offset:128
	ds_write_b16 v34, v36 offset:256
	;; [unrolled: 1-line block ×3, first 2 shown]
	s_waitcnt lgkmcnt(0)
	s_barrier
	ds_read_b64 v[0:1], v15
	v_cmp_gt_i32_e64 s[2:3], s4, v35
	s_and_b64 s[6:7], s[2:3], s[0:1]
	v_add_u32_e32 v16, s5, v16
	v_cndmask_b32_e64 v35, v17, 0, s[6:7]
	v_lshl_add_u32 v16, v16, 1, v35
	s_waitcnt lgkmcnt(0)
	buffer_atomic_pk_add_f16 v0, v16, s[12:15], 0 offen
	buffer_atomic_pk_add_f16 v1, v16, s[12:15], 4 offen
	v_cvt_f16_f32_e32 v0, v46
	v_cvt_f16_f32_e32 v1, v47
	;; [unrolled: 1-line block ×4, first 2 shown]
	s_waitcnt lgkmcnt(0)
	s_barrier
	ds_write_b16 v34, v0
	ds_write_b16 v34, v1 offset:128
	ds_write_b16 v34, v16 offset:256
	;; [unrolled: 1-line block ×3, first 2 shown]
	s_waitcnt lgkmcnt(0)
	s_barrier
	ds_read_b64 v[0:1], v15
	s_and_b64 s[2:3], vcc, s[2:3]
	v_add_u32_e32 v14, s5, v14
	v_cndmask_b32_e64 v16, v17, 0, s[2:3]
	v_lshl_add_u32 v16, v14, 1, v16
	s_waitcnt lgkmcnt(0)
	buffer_atomic_pk_add_f16 v0, v16, s[12:15], 0 offen
	buffer_atomic_pk_add_f16 v1, v16, s[12:15], 4 offen
	v_cvt_f16_f32_e32 v0, v70
	v_cvt_f16_f32_e32 v1, v71
	;; [unrolled: 1-line block ×4, first 2 shown]
	v_or_b32_e32 v16, 64, v67
	s_waitcnt lgkmcnt(0)
	s_barrier
	ds_write_b16 v34, v0
	ds_write_b16 v34, v1 offset:128
	ds_write_b16 v34, v35 offset:256
	ds_write_b16 v34, v36 offset:384
	s_waitcnt lgkmcnt(0)
	s_barrier
	ds_read_b64 v[0:1], v15
	v_cmp_gt_i32_e64 s[2:3], s4, v16
	s_and_b64 s[6:7], vcc, s[2:3]
	v_add_u32_e32 v14, s5, v14
	v_cndmask_b32_e64 v16, v17, 0, s[6:7]
	v_lshl_add_u32 v16, v14, 1, v16
	s_waitcnt lgkmcnt(0)
	buffer_atomic_pk_add_f16 v0, v16, s[12:15], 0 offen
	buffer_atomic_pk_add_f16 v1, v16, s[12:15], 4 offen
	v_cvt_f16_f32_e32 v0, v30
	v_cvt_f16_f32_e32 v1, v31
	;; [unrolled: 1-line block ×4, first 2 shown]
	s_waitcnt lgkmcnt(0)
	s_barrier
	ds_write_b16 v34, v0
	ds_write_b16 v34, v1 offset:128
	ds_write_b16 v34, v16 offset:256
	;; [unrolled: 1-line block ×3, first 2 shown]
	s_waitcnt lgkmcnt(0)
	s_barrier
	ds_read_b64 v[0:1], v15
	s_and_b64 s[2:3], s[2:3], s[0:1]
	v_add_u32_e32 v16, 64, v14
	v_cndmask_b32_e64 v30, v17, 0, s[2:3]
	v_lshl_add_u32 v30, v16, 1, v30
	s_waitcnt lgkmcnt(0)
	buffer_atomic_pk_add_f16 v0, v30, s[12:15], 0 offen
	buffer_atomic_pk_add_f16 v1, v30, s[12:15], 4 offen
	v_cvt_f16_f32_e32 v0, v26
	v_cvt_f16_f32_e32 v1, v27
	;; [unrolled: 1-line block ×4, first 2 shown]
	v_or_b32_e32 v30, 0x50, v67
	s_waitcnt lgkmcnt(0)
	s_barrier
	ds_write_b16 v34, v0
	ds_write_b16 v34, v1 offset:128
	ds_write_b16 v34, v26 offset:256
	;; [unrolled: 1-line block ×3, first 2 shown]
	s_waitcnt lgkmcnt(0)
	s_barrier
	ds_read_b64 v[0:1], v15
	v_cmp_gt_i32_e64 s[2:3], s4, v30
	s_and_b64 s[6:7], s[2:3], s[0:1]
	v_add_u32_e32 v16, s5, v16
	v_cndmask_b32_e64 v26, v17, 0, s[6:7]
	v_lshl_add_u32 v16, v16, 1, v26
	s_waitcnt lgkmcnt(0)
	buffer_atomic_pk_add_f16 v0, v16, s[12:15], 0 offen
	buffer_atomic_pk_add_f16 v1, v16, s[12:15], 4 offen
	v_cvt_f16_f32_e32 v0, v22
	v_cvt_f16_f32_e32 v1, v23
	;; [unrolled: 1-line block ×4, first 2 shown]
	s_waitcnt lgkmcnt(0)
	s_barrier
	ds_write_b16 v34, v0
	ds_write_b16 v34, v1 offset:128
	ds_write_b16 v34, v16 offset:256
	;; [unrolled: 1-line block ×3, first 2 shown]
	s_waitcnt lgkmcnt(0)
	s_barrier
	ds_read_b64 v[0:1], v15
	s_and_b64 s[2:3], vcc, s[2:3]
	v_add_u32_e32 v14, s5, v14
	v_cndmask_b32_e64 v16, v17, 0, s[2:3]
	v_lshl_add_u32 v16, v14, 1, v16
	s_waitcnt lgkmcnt(0)
	buffer_atomic_pk_add_f16 v0, v16, s[12:15], 0 offen
	buffer_atomic_pk_add_f16 v1, v16, s[12:15], 4 offen
	v_cvt_f16_f32_e32 v0, v18
	v_cvt_f16_f32_e32 v1, v19
	;; [unrolled: 1-line block ×4, first 2 shown]
	v_or_b32_e32 v16, 0x60, v67
	s_waitcnt lgkmcnt(0)
	s_barrier
	ds_write_b16 v34, v0
	ds_write_b16 v34, v1 offset:128
	ds_write_b16 v34, v18 offset:256
	;; [unrolled: 1-line block ×3, first 2 shown]
	s_waitcnt lgkmcnt(0)
	s_barrier
	ds_read_b64 v[0:1], v15
	v_cmp_gt_i32_e64 s[2:3], s4, v16
	s_and_b64 s[6:7], vcc, s[2:3]
	v_add_u32_e32 v14, s5, v14
	v_cndmask_b32_e64 v16, v17, 0, s[6:7]
	v_lshl_add_u32 v16, v14, 1, v16
	s_waitcnt lgkmcnt(0)
	buffer_atomic_pk_add_f16 v0, v16, s[12:15], 0 offen
	buffer_atomic_pk_add_f16 v1, v16, s[12:15], 4 offen
	v_cvt_f16_f32_e32 v0, v10
	v_cvt_f16_f32_e32 v1, v11
	;; [unrolled: 1-line block ×4, first 2 shown]
	s_waitcnt lgkmcnt(0)
	s_barrier
	ds_write_b16 v34, v0
	ds_write_b16 v34, v1 offset:128
	ds_write_b16 v34, v10 offset:256
	ds_write_b16 v34, v11 offset:384
	s_waitcnt lgkmcnt(0)
	s_barrier
	ds_read_b64 v[0:1], v15
	s_and_b64 s[2:3], s[2:3], s[0:1]
	v_add_u32_e32 v10, 64, v14
	v_cndmask_b32_e64 v11, v17, 0, s[2:3]
	v_lshl_add_u32 v11, v10, 1, v11
	s_waitcnt lgkmcnt(0)
	buffer_atomic_pk_add_f16 v0, v11, s[12:15], 0 offen
	buffer_atomic_pk_add_f16 v1, v11, s[12:15], 4 offen
	v_cvt_f16_f32_e32 v0, v2
	v_cvt_f16_f32_e32 v1, v3
	;; [unrolled: 1-line block ×4, first 2 shown]
	v_or_b32_e32 v11, 0x70, v67
	s_waitcnt lgkmcnt(0)
	s_barrier
	ds_write_b16 v34, v0
	ds_write_b16 v34, v1 offset:128
	ds_write_b16 v34, v2 offset:256
	;; [unrolled: 1-line block ×3, first 2 shown]
	s_waitcnt lgkmcnt(0)
	s_barrier
	ds_read_b64 v[0:1], v15
	v_cmp_gt_i32_e64 s[2:3], s4, v11
	s_and_b64 s[0:1], s[2:3], s[0:1]
	v_add_u32_e32 v10, s5, v10
	v_cndmask_b32_e64 v2, v17, 0, s[0:1]
	v_lshl_add_u32 v2, v10, 1, v2
	s_waitcnt lgkmcnt(0)
	buffer_atomic_pk_add_f16 v0, v2, s[12:15], 0 offen
	buffer_atomic_pk_add_f16 v1, v2, s[12:15], 4 offen
	v_cvt_f16_f32_e32 v0, v6
	v_cvt_f16_f32_e32 v1, v7
	;; [unrolled: 1-line block ×4, first 2 shown]
	s_waitcnt lgkmcnt(0)
	s_barrier
	ds_write_b16 v34, v0
	ds_write_b16 v34, v1 offset:128
	ds_write_b16 v34, v2 offset:256
	;; [unrolled: 1-line block ×3, first 2 shown]
	s_waitcnt lgkmcnt(0)
	s_barrier
	ds_read_b64 v[0:1], v15
	s_and_b64 s[0:1], vcc, s[2:3]
	v_add_u32_e32 v2, s5, v14
	v_cndmask_b32_e64 v3, v17, 0, s[0:1]
	v_lshl_add_u32 v2, v2, 1, v3
	s_waitcnt lgkmcnt(0)
	buffer_atomic_pk_add_f16 v0, v2, s[12:15], 0 offen
	buffer_atomic_pk_add_f16 v1, v2, s[12:15], 4 offen
	s_endpgm
	.section	.rodata,"a",@progbits
	.p2align	6, 0x0
	.amdhsa_kernel _ZN2ck27kernel_gemm_xdl_cshuffle_v3INS_28GridwiseGemm_xdl_cshuffle_v3INS_13tensor_layout4gemm8RowMajorENS3_11ColumnMajorES4_DF16_NS_7pk_i4_tEfDF16_DF16_NS_16tensor_operation12element_wise11PassThroughES9_S9_LNS7_6device18GemmSpecializationE0ELi256ELi1ELi128ELi128ELi128ELi64ELi8ELi16ELi16ELi16ELi8ELi2ENS_8SequenceIJLi8ELi32ELi1EEEENSC_IJLi1ELi0ELi2EEEESE_Li2ELi8ELi8ELb0ELi0ENSC_IJLi2ELi128ELi1EEEESE_SE_Li2ELi16ELi16ELb0ELi0ELi1ELi1ENSC_IJLi1ELi16ELi1ELi16EEEELi4ELNS_26BlockGemmPipelineSchedulerE0ELNS_24BlockGemmPipelineVersionE2EDF16_DF16_Lb0ELb1EEELb1ELNS_25InMemoryDataOperationEnumE1ELi2ELNS_10TailNumberE10EEEvNT_8ArgumentE
		.amdhsa_group_segment_fixed_size 20480
		.amdhsa_private_segment_fixed_size 0
		.amdhsa_kernarg_size 120
		.amdhsa_user_sgpr_count 2
		.amdhsa_user_sgpr_dispatch_ptr 0
		.amdhsa_user_sgpr_queue_ptr 0
		.amdhsa_user_sgpr_kernarg_segment_ptr 1
		.amdhsa_user_sgpr_dispatch_id 0
		.amdhsa_user_sgpr_kernarg_preload_length 0
		.amdhsa_user_sgpr_kernarg_preload_offset 0
		.amdhsa_user_sgpr_private_segment_size 0
		.amdhsa_uses_dynamic_stack 0
		.amdhsa_enable_private_segment 0
		.amdhsa_system_sgpr_workgroup_id_x 1
		.amdhsa_system_sgpr_workgroup_id_y 0
		.amdhsa_system_sgpr_workgroup_id_z 1
		.amdhsa_system_sgpr_workgroup_info 0
		.amdhsa_system_vgpr_workitem_id 0
		.amdhsa_next_free_vgpr 205
		.amdhsa_next_free_sgpr 36
		.amdhsa_accum_offset 208
		.amdhsa_reserve_vcc 1
		.amdhsa_float_round_mode_32 0
		.amdhsa_float_round_mode_16_64 0
		.amdhsa_float_denorm_mode_32 3
		.amdhsa_float_denorm_mode_16_64 3
		.amdhsa_dx10_clamp 1
		.amdhsa_ieee_mode 1
		.amdhsa_fp16_overflow 0
		.amdhsa_tg_split 0
		.amdhsa_exception_fp_ieee_invalid_op 0
		.amdhsa_exception_fp_denorm_src 0
		.amdhsa_exception_fp_ieee_div_zero 0
		.amdhsa_exception_fp_ieee_overflow 0
		.amdhsa_exception_fp_ieee_underflow 0
		.amdhsa_exception_fp_ieee_inexact 0
		.amdhsa_exception_int_div_zero 0
	.end_amdhsa_kernel
	.section	.text._ZN2ck27kernel_gemm_xdl_cshuffle_v3INS_28GridwiseGemm_xdl_cshuffle_v3INS_13tensor_layout4gemm8RowMajorENS3_11ColumnMajorES4_DF16_NS_7pk_i4_tEfDF16_DF16_NS_16tensor_operation12element_wise11PassThroughES9_S9_LNS7_6device18GemmSpecializationE0ELi256ELi1ELi128ELi128ELi128ELi64ELi8ELi16ELi16ELi16ELi8ELi2ENS_8SequenceIJLi8ELi32ELi1EEEENSC_IJLi1ELi0ELi2EEEESE_Li2ELi8ELi8ELb0ELi0ENSC_IJLi2ELi128ELi1EEEESE_SE_Li2ELi16ELi16ELb0ELi0ELi1ELi1ENSC_IJLi1ELi16ELi1ELi16EEEELi4ELNS_26BlockGemmPipelineSchedulerE0ELNS_24BlockGemmPipelineVersionE2EDF16_DF16_Lb0ELb1EEELb1ELNS_25InMemoryDataOperationEnumE1ELi2ELNS_10TailNumberE10EEEvNT_8ArgumentE,"axG",@progbits,_ZN2ck27kernel_gemm_xdl_cshuffle_v3INS_28GridwiseGemm_xdl_cshuffle_v3INS_13tensor_layout4gemm8RowMajorENS3_11ColumnMajorES4_DF16_NS_7pk_i4_tEfDF16_DF16_NS_16tensor_operation12element_wise11PassThroughES9_S9_LNS7_6device18GemmSpecializationE0ELi256ELi1ELi128ELi128ELi128ELi64ELi8ELi16ELi16ELi16ELi8ELi2ENS_8SequenceIJLi8ELi32ELi1EEEENSC_IJLi1ELi0ELi2EEEESE_Li2ELi8ELi8ELb0ELi0ENSC_IJLi2ELi128ELi1EEEESE_SE_Li2ELi16ELi16ELb0ELi0ELi1ELi1ENSC_IJLi1ELi16ELi1ELi16EEEELi4ELNS_26BlockGemmPipelineSchedulerE0ELNS_24BlockGemmPipelineVersionE2EDF16_DF16_Lb0ELb1EEELb1ELNS_25InMemoryDataOperationEnumE1ELi2ELNS_10TailNumberE10EEEvNT_8ArgumentE,comdat
.Lfunc_end1:
	.size	_ZN2ck27kernel_gemm_xdl_cshuffle_v3INS_28GridwiseGemm_xdl_cshuffle_v3INS_13tensor_layout4gemm8RowMajorENS3_11ColumnMajorES4_DF16_NS_7pk_i4_tEfDF16_DF16_NS_16tensor_operation12element_wise11PassThroughES9_S9_LNS7_6device18GemmSpecializationE0ELi256ELi1ELi128ELi128ELi128ELi64ELi8ELi16ELi16ELi16ELi8ELi2ENS_8SequenceIJLi8ELi32ELi1EEEENSC_IJLi1ELi0ELi2EEEESE_Li2ELi8ELi8ELb0ELi0ENSC_IJLi2ELi128ELi1EEEESE_SE_Li2ELi16ELi16ELb0ELi0ELi1ELi1ENSC_IJLi1ELi16ELi1ELi16EEEELi4ELNS_26BlockGemmPipelineSchedulerE0ELNS_24BlockGemmPipelineVersionE2EDF16_DF16_Lb0ELb1EEELb1ELNS_25InMemoryDataOperationEnumE1ELi2ELNS_10TailNumberE10EEEvNT_8ArgumentE, .Lfunc_end1-_ZN2ck27kernel_gemm_xdl_cshuffle_v3INS_28GridwiseGemm_xdl_cshuffle_v3INS_13tensor_layout4gemm8RowMajorENS3_11ColumnMajorES4_DF16_NS_7pk_i4_tEfDF16_DF16_NS_16tensor_operation12element_wise11PassThroughES9_S9_LNS7_6device18GemmSpecializationE0ELi256ELi1ELi128ELi128ELi128ELi64ELi8ELi16ELi16ELi16ELi8ELi2ENS_8SequenceIJLi8ELi32ELi1EEEENSC_IJLi1ELi0ELi2EEEESE_Li2ELi8ELi8ELb0ELi0ENSC_IJLi2ELi128ELi1EEEESE_SE_Li2ELi16ELi16ELb0ELi0ELi1ELi1ENSC_IJLi1ELi16ELi1ELi16EEEELi4ELNS_26BlockGemmPipelineSchedulerE0ELNS_24BlockGemmPipelineVersionE2EDF16_DF16_Lb0ELb1EEELb1ELNS_25InMemoryDataOperationEnumE1ELi2ELNS_10TailNumberE10EEEvNT_8ArgumentE
                                        ; -- End function
	.set _ZN2ck27kernel_gemm_xdl_cshuffle_v3INS_28GridwiseGemm_xdl_cshuffle_v3INS_13tensor_layout4gemm8RowMajorENS3_11ColumnMajorES4_DF16_NS_7pk_i4_tEfDF16_DF16_NS_16tensor_operation12element_wise11PassThroughES9_S9_LNS7_6device18GemmSpecializationE0ELi256ELi1ELi128ELi128ELi128ELi64ELi8ELi16ELi16ELi16ELi8ELi2ENS_8SequenceIJLi8ELi32ELi1EEEENSC_IJLi1ELi0ELi2EEEESE_Li2ELi8ELi8ELb0ELi0ENSC_IJLi2ELi128ELi1EEEESE_SE_Li2ELi16ELi16ELb0ELi0ELi1ELi1ENSC_IJLi1ELi16ELi1ELi16EEEELi4ELNS_26BlockGemmPipelineSchedulerE0ELNS_24BlockGemmPipelineVersionE2EDF16_DF16_Lb0ELb1EEELb1ELNS_25InMemoryDataOperationEnumE1ELi2ELNS_10TailNumberE10EEEvNT_8ArgumentE.num_vgpr, 205
	.set _ZN2ck27kernel_gemm_xdl_cshuffle_v3INS_28GridwiseGemm_xdl_cshuffle_v3INS_13tensor_layout4gemm8RowMajorENS3_11ColumnMajorES4_DF16_NS_7pk_i4_tEfDF16_DF16_NS_16tensor_operation12element_wise11PassThroughES9_S9_LNS7_6device18GemmSpecializationE0ELi256ELi1ELi128ELi128ELi128ELi64ELi8ELi16ELi16ELi16ELi8ELi2ENS_8SequenceIJLi8ELi32ELi1EEEENSC_IJLi1ELi0ELi2EEEESE_Li2ELi8ELi8ELb0ELi0ENSC_IJLi2ELi128ELi1EEEESE_SE_Li2ELi16ELi16ELb0ELi0ELi1ELi1ENSC_IJLi1ELi16ELi1ELi16EEEELi4ELNS_26BlockGemmPipelineSchedulerE0ELNS_24BlockGemmPipelineVersionE2EDF16_DF16_Lb0ELb1EEELb1ELNS_25InMemoryDataOperationEnumE1ELi2ELNS_10TailNumberE10EEEvNT_8ArgumentE.num_agpr, 0
	.set _ZN2ck27kernel_gemm_xdl_cshuffle_v3INS_28GridwiseGemm_xdl_cshuffle_v3INS_13tensor_layout4gemm8RowMajorENS3_11ColumnMajorES4_DF16_NS_7pk_i4_tEfDF16_DF16_NS_16tensor_operation12element_wise11PassThroughES9_S9_LNS7_6device18GemmSpecializationE0ELi256ELi1ELi128ELi128ELi128ELi64ELi8ELi16ELi16ELi16ELi8ELi2ENS_8SequenceIJLi8ELi32ELi1EEEENSC_IJLi1ELi0ELi2EEEESE_Li2ELi8ELi8ELb0ELi0ENSC_IJLi2ELi128ELi1EEEESE_SE_Li2ELi16ELi16ELb0ELi0ELi1ELi1ENSC_IJLi1ELi16ELi1ELi16EEEELi4ELNS_26BlockGemmPipelineSchedulerE0ELNS_24BlockGemmPipelineVersionE2EDF16_DF16_Lb0ELb1EEELb1ELNS_25InMemoryDataOperationEnumE1ELi2ELNS_10TailNumberE10EEEvNT_8ArgumentE.numbered_sgpr, 36
	.set _ZN2ck27kernel_gemm_xdl_cshuffle_v3INS_28GridwiseGemm_xdl_cshuffle_v3INS_13tensor_layout4gemm8RowMajorENS3_11ColumnMajorES4_DF16_NS_7pk_i4_tEfDF16_DF16_NS_16tensor_operation12element_wise11PassThroughES9_S9_LNS7_6device18GemmSpecializationE0ELi256ELi1ELi128ELi128ELi128ELi64ELi8ELi16ELi16ELi16ELi8ELi2ENS_8SequenceIJLi8ELi32ELi1EEEENSC_IJLi1ELi0ELi2EEEESE_Li2ELi8ELi8ELb0ELi0ENSC_IJLi2ELi128ELi1EEEESE_SE_Li2ELi16ELi16ELb0ELi0ELi1ELi1ENSC_IJLi1ELi16ELi1ELi16EEEELi4ELNS_26BlockGemmPipelineSchedulerE0ELNS_24BlockGemmPipelineVersionE2EDF16_DF16_Lb0ELb1EEELb1ELNS_25InMemoryDataOperationEnumE1ELi2ELNS_10TailNumberE10EEEvNT_8ArgumentE.num_named_barrier, 0
	.set _ZN2ck27kernel_gemm_xdl_cshuffle_v3INS_28GridwiseGemm_xdl_cshuffle_v3INS_13tensor_layout4gemm8RowMajorENS3_11ColumnMajorES4_DF16_NS_7pk_i4_tEfDF16_DF16_NS_16tensor_operation12element_wise11PassThroughES9_S9_LNS7_6device18GemmSpecializationE0ELi256ELi1ELi128ELi128ELi128ELi64ELi8ELi16ELi16ELi16ELi8ELi2ENS_8SequenceIJLi8ELi32ELi1EEEENSC_IJLi1ELi0ELi2EEEESE_Li2ELi8ELi8ELb0ELi0ENSC_IJLi2ELi128ELi1EEEESE_SE_Li2ELi16ELi16ELb0ELi0ELi1ELi1ENSC_IJLi1ELi16ELi1ELi16EEEELi4ELNS_26BlockGemmPipelineSchedulerE0ELNS_24BlockGemmPipelineVersionE2EDF16_DF16_Lb0ELb1EEELb1ELNS_25InMemoryDataOperationEnumE1ELi2ELNS_10TailNumberE10EEEvNT_8ArgumentE.private_seg_size, 0
	.set _ZN2ck27kernel_gemm_xdl_cshuffle_v3INS_28GridwiseGemm_xdl_cshuffle_v3INS_13tensor_layout4gemm8RowMajorENS3_11ColumnMajorES4_DF16_NS_7pk_i4_tEfDF16_DF16_NS_16tensor_operation12element_wise11PassThroughES9_S9_LNS7_6device18GemmSpecializationE0ELi256ELi1ELi128ELi128ELi128ELi64ELi8ELi16ELi16ELi16ELi8ELi2ENS_8SequenceIJLi8ELi32ELi1EEEENSC_IJLi1ELi0ELi2EEEESE_Li2ELi8ELi8ELb0ELi0ENSC_IJLi2ELi128ELi1EEEESE_SE_Li2ELi16ELi16ELb0ELi0ELi1ELi1ENSC_IJLi1ELi16ELi1ELi16EEEELi4ELNS_26BlockGemmPipelineSchedulerE0ELNS_24BlockGemmPipelineVersionE2EDF16_DF16_Lb0ELb1EEELb1ELNS_25InMemoryDataOperationEnumE1ELi2ELNS_10TailNumberE10EEEvNT_8ArgumentE.uses_vcc, 1
	.set _ZN2ck27kernel_gemm_xdl_cshuffle_v3INS_28GridwiseGemm_xdl_cshuffle_v3INS_13tensor_layout4gemm8RowMajorENS3_11ColumnMajorES4_DF16_NS_7pk_i4_tEfDF16_DF16_NS_16tensor_operation12element_wise11PassThroughES9_S9_LNS7_6device18GemmSpecializationE0ELi256ELi1ELi128ELi128ELi128ELi64ELi8ELi16ELi16ELi16ELi8ELi2ENS_8SequenceIJLi8ELi32ELi1EEEENSC_IJLi1ELi0ELi2EEEESE_Li2ELi8ELi8ELb0ELi0ENSC_IJLi2ELi128ELi1EEEESE_SE_Li2ELi16ELi16ELb0ELi0ELi1ELi1ENSC_IJLi1ELi16ELi1ELi16EEEELi4ELNS_26BlockGemmPipelineSchedulerE0ELNS_24BlockGemmPipelineVersionE2EDF16_DF16_Lb0ELb1EEELb1ELNS_25InMemoryDataOperationEnumE1ELi2ELNS_10TailNumberE10EEEvNT_8ArgumentE.uses_flat_scratch, 0
	.set _ZN2ck27kernel_gemm_xdl_cshuffle_v3INS_28GridwiseGemm_xdl_cshuffle_v3INS_13tensor_layout4gemm8RowMajorENS3_11ColumnMajorES4_DF16_NS_7pk_i4_tEfDF16_DF16_NS_16tensor_operation12element_wise11PassThroughES9_S9_LNS7_6device18GemmSpecializationE0ELi256ELi1ELi128ELi128ELi128ELi64ELi8ELi16ELi16ELi16ELi8ELi2ENS_8SequenceIJLi8ELi32ELi1EEEENSC_IJLi1ELi0ELi2EEEESE_Li2ELi8ELi8ELb0ELi0ENSC_IJLi2ELi128ELi1EEEESE_SE_Li2ELi16ELi16ELb0ELi0ELi1ELi1ENSC_IJLi1ELi16ELi1ELi16EEEELi4ELNS_26BlockGemmPipelineSchedulerE0ELNS_24BlockGemmPipelineVersionE2EDF16_DF16_Lb0ELb1EEELb1ELNS_25InMemoryDataOperationEnumE1ELi2ELNS_10TailNumberE10EEEvNT_8ArgumentE.has_dyn_sized_stack, 0
	.set _ZN2ck27kernel_gemm_xdl_cshuffle_v3INS_28GridwiseGemm_xdl_cshuffle_v3INS_13tensor_layout4gemm8RowMajorENS3_11ColumnMajorES4_DF16_NS_7pk_i4_tEfDF16_DF16_NS_16tensor_operation12element_wise11PassThroughES9_S9_LNS7_6device18GemmSpecializationE0ELi256ELi1ELi128ELi128ELi128ELi64ELi8ELi16ELi16ELi16ELi8ELi2ENS_8SequenceIJLi8ELi32ELi1EEEENSC_IJLi1ELi0ELi2EEEESE_Li2ELi8ELi8ELb0ELi0ENSC_IJLi2ELi128ELi1EEEESE_SE_Li2ELi16ELi16ELb0ELi0ELi1ELi1ENSC_IJLi1ELi16ELi1ELi16EEEELi4ELNS_26BlockGemmPipelineSchedulerE0ELNS_24BlockGemmPipelineVersionE2EDF16_DF16_Lb0ELb1EEELb1ELNS_25InMemoryDataOperationEnumE1ELi2ELNS_10TailNumberE10EEEvNT_8ArgumentE.has_recursion, 0
	.set _ZN2ck27kernel_gemm_xdl_cshuffle_v3INS_28GridwiseGemm_xdl_cshuffle_v3INS_13tensor_layout4gemm8RowMajorENS3_11ColumnMajorES4_DF16_NS_7pk_i4_tEfDF16_DF16_NS_16tensor_operation12element_wise11PassThroughES9_S9_LNS7_6device18GemmSpecializationE0ELi256ELi1ELi128ELi128ELi128ELi64ELi8ELi16ELi16ELi16ELi8ELi2ENS_8SequenceIJLi8ELi32ELi1EEEENSC_IJLi1ELi0ELi2EEEESE_Li2ELi8ELi8ELb0ELi0ENSC_IJLi2ELi128ELi1EEEESE_SE_Li2ELi16ELi16ELb0ELi0ELi1ELi1ENSC_IJLi1ELi16ELi1ELi16EEEELi4ELNS_26BlockGemmPipelineSchedulerE0ELNS_24BlockGemmPipelineVersionE2EDF16_DF16_Lb0ELb1EEELb1ELNS_25InMemoryDataOperationEnumE1ELi2ELNS_10TailNumberE10EEEvNT_8ArgumentE.has_indirect_call, 0
	.section	.AMDGPU.csdata,"",@progbits
; Kernel info:
; codeLenInByte = 6376
; TotalNumSgprs: 42
; NumVgprs: 205
; NumAgprs: 0
; TotalNumVgprs: 205
; ScratchSize: 0
; MemoryBound: 0
; FloatMode: 240
; IeeeMode: 1
; LDSByteSize: 20480 bytes/workgroup (compile time only)
; SGPRBlocks: 5
; VGPRBlocks: 25
; NumSGPRsForWavesPerEU: 42
; NumVGPRsForWavesPerEU: 205
; AccumOffset: 208
; Occupancy: 2
; WaveLimiterHint : 0
; COMPUTE_PGM_RSRC2:SCRATCH_EN: 0
; COMPUTE_PGM_RSRC2:USER_SGPR: 2
; COMPUTE_PGM_RSRC2:TRAP_HANDLER: 0
; COMPUTE_PGM_RSRC2:TGID_X_EN: 1
; COMPUTE_PGM_RSRC2:TGID_Y_EN: 0
; COMPUTE_PGM_RSRC2:TGID_Z_EN: 1
; COMPUTE_PGM_RSRC2:TIDIG_COMP_CNT: 0
; COMPUTE_PGM_RSRC3_GFX90A:ACCUM_OFFSET: 51
; COMPUTE_PGM_RSRC3_GFX90A:TG_SPLIT: 0
	.section	.text._ZN2ck27kernel_gemm_xdl_cshuffle_v3INS_28GridwiseGemm_xdl_cshuffle_v3INS_13tensor_layout4gemm8RowMajorENS3_11ColumnMajorES4_DF16_NS_7pk_i4_tEfDF16_DF16_NS_16tensor_operation12element_wise11PassThroughES9_S9_LNS7_6device18GemmSpecializationE0ELi256ELi1ELi128ELi128ELi128ELi64ELi8ELi16ELi16ELi16ELi8ELi2ENS_8SequenceIJLi8ELi32ELi1EEEENSC_IJLi1ELi0ELi2EEEESE_Li2ELi8ELi8ELb0ELi0ENSC_IJLi2ELi128ELi1EEEESE_SE_Li2ELi16ELi16ELb0ELi0ELi1ELi1ENSC_IJLi1ELi16ELi1ELi16EEEELi4ELNS_26BlockGemmPipelineSchedulerE0ELNS_24BlockGemmPipelineVersionE2EDF16_DF16_Lb0ELb1EEELb1ELNS_25InMemoryDataOperationEnumE0ELi2ELNS_10TailNumberE10EEEvNT_8ArgumentE,"axG",@progbits,_ZN2ck27kernel_gemm_xdl_cshuffle_v3INS_28GridwiseGemm_xdl_cshuffle_v3INS_13tensor_layout4gemm8RowMajorENS3_11ColumnMajorES4_DF16_NS_7pk_i4_tEfDF16_DF16_NS_16tensor_operation12element_wise11PassThroughES9_S9_LNS7_6device18GemmSpecializationE0ELi256ELi1ELi128ELi128ELi128ELi64ELi8ELi16ELi16ELi16ELi8ELi2ENS_8SequenceIJLi8ELi32ELi1EEEENSC_IJLi1ELi0ELi2EEEESE_Li2ELi8ELi8ELb0ELi0ENSC_IJLi2ELi128ELi1EEEESE_SE_Li2ELi16ELi16ELb0ELi0ELi1ELi1ENSC_IJLi1ELi16ELi1ELi16EEEELi4ELNS_26BlockGemmPipelineSchedulerE0ELNS_24BlockGemmPipelineVersionE2EDF16_DF16_Lb0ELb1EEELb1ELNS_25InMemoryDataOperationEnumE0ELi2ELNS_10TailNumberE10EEEvNT_8ArgumentE,comdat
	.protected	_ZN2ck27kernel_gemm_xdl_cshuffle_v3INS_28GridwiseGemm_xdl_cshuffle_v3INS_13tensor_layout4gemm8RowMajorENS3_11ColumnMajorES4_DF16_NS_7pk_i4_tEfDF16_DF16_NS_16tensor_operation12element_wise11PassThroughES9_S9_LNS7_6device18GemmSpecializationE0ELi256ELi1ELi128ELi128ELi128ELi64ELi8ELi16ELi16ELi16ELi8ELi2ENS_8SequenceIJLi8ELi32ELi1EEEENSC_IJLi1ELi0ELi2EEEESE_Li2ELi8ELi8ELb0ELi0ENSC_IJLi2ELi128ELi1EEEESE_SE_Li2ELi16ELi16ELb0ELi0ELi1ELi1ENSC_IJLi1ELi16ELi1ELi16EEEELi4ELNS_26BlockGemmPipelineSchedulerE0ELNS_24BlockGemmPipelineVersionE2EDF16_DF16_Lb0ELb1EEELb1ELNS_25InMemoryDataOperationEnumE0ELi2ELNS_10TailNumberE10EEEvNT_8ArgumentE ; -- Begin function _ZN2ck27kernel_gemm_xdl_cshuffle_v3INS_28GridwiseGemm_xdl_cshuffle_v3INS_13tensor_layout4gemm8RowMajorENS3_11ColumnMajorES4_DF16_NS_7pk_i4_tEfDF16_DF16_NS_16tensor_operation12element_wise11PassThroughES9_S9_LNS7_6device18GemmSpecializationE0ELi256ELi1ELi128ELi128ELi128ELi64ELi8ELi16ELi16ELi16ELi8ELi2ENS_8SequenceIJLi8ELi32ELi1EEEENSC_IJLi1ELi0ELi2EEEESE_Li2ELi8ELi8ELb0ELi0ENSC_IJLi2ELi128ELi1EEEESE_SE_Li2ELi16ELi16ELb0ELi0ELi1ELi1ENSC_IJLi1ELi16ELi1ELi16EEEELi4ELNS_26BlockGemmPipelineSchedulerE0ELNS_24BlockGemmPipelineVersionE2EDF16_DF16_Lb0ELb1EEELb1ELNS_25InMemoryDataOperationEnumE0ELi2ELNS_10TailNumberE10EEEvNT_8ArgumentE
	.globl	_ZN2ck27kernel_gemm_xdl_cshuffle_v3INS_28GridwiseGemm_xdl_cshuffle_v3INS_13tensor_layout4gemm8RowMajorENS3_11ColumnMajorES4_DF16_NS_7pk_i4_tEfDF16_DF16_NS_16tensor_operation12element_wise11PassThroughES9_S9_LNS7_6device18GemmSpecializationE0ELi256ELi1ELi128ELi128ELi128ELi64ELi8ELi16ELi16ELi16ELi8ELi2ENS_8SequenceIJLi8ELi32ELi1EEEENSC_IJLi1ELi0ELi2EEEESE_Li2ELi8ELi8ELb0ELi0ENSC_IJLi2ELi128ELi1EEEESE_SE_Li2ELi16ELi16ELb0ELi0ELi1ELi1ENSC_IJLi1ELi16ELi1ELi16EEEELi4ELNS_26BlockGemmPipelineSchedulerE0ELNS_24BlockGemmPipelineVersionE2EDF16_DF16_Lb0ELb1EEELb1ELNS_25InMemoryDataOperationEnumE0ELi2ELNS_10TailNumberE10EEEvNT_8ArgumentE
	.p2align	8
	.type	_ZN2ck27kernel_gemm_xdl_cshuffle_v3INS_28GridwiseGemm_xdl_cshuffle_v3INS_13tensor_layout4gemm8RowMajorENS3_11ColumnMajorES4_DF16_NS_7pk_i4_tEfDF16_DF16_NS_16tensor_operation12element_wise11PassThroughES9_S9_LNS7_6device18GemmSpecializationE0ELi256ELi1ELi128ELi128ELi128ELi64ELi8ELi16ELi16ELi16ELi8ELi2ENS_8SequenceIJLi8ELi32ELi1EEEENSC_IJLi1ELi0ELi2EEEESE_Li2ELi8ELi8ELb0ELi0ENSC_IJLi2ELi128ELi1EEEESE_SE_Li2ELi16ELi16ELb0ELi0ELi1ELi1ENSC_IJLi1ELi16ELi1ELi16EEEELi4ELNS_26BlockGemmPipelineSchedulerE0ELNS_24BlockGemmPipelineVersionE2EDF16_DF16_Lb0ELb1EEELb1ELNS_25InMemoryDataOperationEnumE0ELi2ELNS_10TailNumberE10EEEvNT_8ArgumentE,@function
_ZN2ck27kernel_gemm_xdl_cshuffle_v3INS_28GridwiseGemm_xdl_cshuffle_v3INS_13tensor_layout4gemm8RowMajorENS3_11ColumnMajorES4_DF16_NS_7pk_i4_tEfDF16_DF16_NS_16tensor_operation12element_wise11PassThroughES9_S9_LNS7_6device18GemmSpecializationE0ELi256ELi1ELi128ELi128ELi128ELi64ELi8ELi16ELi16ELi16ELi8ELi2ENS_8SequenceIJLi8ELi32ELi1EEEENSC_IJLi1ELi0ELi2EEEESE_Li2ELi8ELi8ELb0ELi0ENSC_IJLi2ELi128ELi1EEEESE_SE_Li2ELi16ELi16ELb0ELi0ELi1ELi1ENSC_IJLi1ELi16ELi1ELi16EEEELi4ELNS_26BlockGemmPipelineSchedulerE0ELNS_24BlockGemmPipelineVersionE2EDF16_DF16_Lb0ELb1EEELb1ELNS_25InMemoryDataOperationEnumE0ELi2ELNS_10TailNumberE10EEEvNT_8ArgumentE: ; @_ZN2ck27kernel_gemm_xdl_cshuffle_v3INS_28GridwiseGemm_xdl_cshuffle_v3INS_13tensor_layout4gemm8RowMajorENS3_11ColumnMajorES4_DF16_NS_7pk_i4_tEfDF16_DF16_NS_16tensor_operation12element_wise11PassThroughES9_S9_LNS7_6device18GemmSpecializationE0ELi256ELi1ELi128ELi128ELi128ELi64ELi8ELi16ELi16ELi16ELi8ELi2ENS_8SequenceIJLi8ELi32ELi1EEEENSC_IJLi1ELi0ELi2EEEESE_Li2ELi8ELi8ELb0ELi0ENSC_IJLi2ELi128ELi1EEEESE_SE_Li2ELi16ELi16ELb0ELi0ELi1ELi1ENSC_IJLi1ELi16ELi1ELi16EEEELi4ELNS_26BlockGemmPipelineSchedulerE0ELNS_24BlockGemmPipelineVersionE2EDF16_DF16_Lb0ELb1EEELb1ELNS_25InMemoryDataOperationEnumE0ELi2ELNS_10TailNumberE10EEEvNT_8ArgumentE
; %bb.0:
	s_load_dword s12, s[0:1], 0x70
	s_load_dwordx8 s[4:11], s[0:1], 0x10
	s_load_dword s21, s[0:1], 0x40
	s_mov_b64 s[24:25], 0
	s_waitcnt lgkmcnt(0)
	s_lshr_b32 s14, s12, 24
	s_cmp_gt_i32 s11, 1
	s_cselect_b64 s[12:13], -1, 0
	s_bitcmp1_b32 s14, 0
	s_cselect_b64 s[14:15], -1, 0
	s_and_b64 s[12:13], s[12:13], s[14:15]
	s_andn2_b64 vcc, exec, s[12:13]
	s_cbranch_vccnz .LBB2_2
; %bb.1:
	s_mul_i32 s12, s4, s3
	s_mul_i32 s24, s12, s5
	s_ashr_i32 s25, s24, 31
.LBB2_2:
	s_load_dword s20, s[0:1], 0x38
	s_load_dwordx8 s[12:19], s[0:1], 0x50
	s_add_i32 s26, s4, -1
	s_mov_b32 s27, 0
	s_cmpk_lt_u32 s26, 0x80
	s_movk_i32 s28, 0x80
	s_cbranch_scc1 .LBB2_6
; %bb.3:
	s_add_i32 s0, s5, -1
	s_cmpk_lt_u32 s0, 0x80
	s_mov_b32 s0, 0
	s_cbranch_scc1 .LBB2_10
; %bb.4:
	s_add_i32 s0, s4, 0x7f
	s_ashr_i32 s1, s0, 31
	s_lshr_b32 s1, s1, 25
	s_add_i32 s0, s0, s1
	s_ashr_i32 s23, s0, 7
	s_add_i32 s0, s5, 0x7f
	s_ashr_i32 s1, s0, 31
	s_lshr_b32 s1, s1, 25
	s_add_i32 s0, s0, s1
	s_ashr_i32 s22, s0, 7
	s_mul_i32 s0, s22, s23
	s_add_i32 s1, s0, 7
	s_ashr_i32 s29, s1, 31
	s_lshr_b32 s29, s29, 29
	s_add_i32 s1, s1, s29
	s_ashr_i32 s29, s1, 3
	s_and_b32 s1, s1, -8
	s_sub_i32 s30, s0, s1
	s_ashr_i32 s0, s2, 31
	s_lshr_b32 s0, s0, 29
	s_add_i32 s33, s2, s0
	s_and_b32 s0, s33, -8
	s_add_i32 s30, s30, 8
	s_sub_i32 s31, s2, s0
	s_cmp_gt_i32 s31, s30
	s_cbranch_scc1 .LBB2_7
; %bb.5:
	s_mul_i32 s2, s29, s31
	s_ashr_i32 s0, s33, 3
	s_cbranch_execz .LBB2_8
	s_branch .LBB2_9
.LBB2_6:
	s_mov_b32 s29, 0
	s_branch .LBB2_11
.LBB2_7:
                                        ; implicit-def: $sgpr2
	s_ashr_i32 s0, s33, 3
.LBB2_8:
	s_add_i32 s1, s29, -1
	s_mul_i32 s1, s1, s31
	s_add_i32 s2, s30, s1
.LBB2_9:
	s_abs_i32 s1, s22
	v_cvt_f32_u32_e32 v1, s1
	s_sub_i32 s30, 0, s1
	s_add_i32 s0, s2, s0
	s_abs_i32 s29, s0
	v_rcp_iflag_f32_e32 v1, v1
	s_xor_b32 s2, s0, s22
	s_ashr_i32 s2, s2, 31
	v_mul_f32_e32 v1, 0x4f7ffffe, v1
	v_cvt_u32_f32_e32 v1, v1
	s_nop 0
	v_readfirstlane_b32 s31, v1
	s_mul_i32 s30, s30, s31
	s_mul_hi_u32 s30, s31, s30
	s_add_i32 s31, s31, s30
	s_mul_hi_u32 s30, s29, s31
	s_mul_i32 s31, s30, s1
	s_sub_i32 s29, s29, s31
	s_add_i32 s33, s30, 1
	s_sub_i32 s31, s29, s1
	s_cmp_ge_u32 s29, s1
	s_cselect_b32 s30, s33, s30
	s_cselect_b32 s29, s31, s29
	s_add_i32 s31, s30, 1
	s_cmp_ge_u32 s29, s1
	s_cselect_b32 s1, s31, s30
	s_xor_b32 s1, s1, s2
	s_lshr_b32 s29, s23, 30
	s_sub_i32 s1, s1, s2
	s_add_i32 s29, s23, s29
	s_mul_i32 s2, s1, s22
	s_sub_i32 s0, s0, s2
	s_and_b32 s2, s29, -4
	s_sub_i32 s23, s23, s2
	s_cmp_ge_i32 s1, s2
	s_cselect_b32 s2, s23, 4
	s_abs_i32 s29, s2
	v_cvt_f32_u32_e32 v1, s29
	s_ashr_i32 s23, s1, 31
	s_lshr_b32 s23, s23, 30
	s_add_i32 s23, s1, s23
	v_rcp_iflag_f32_e32 v1, v1
	s_and_b32 s23, s23, -4
	s_sub_i32 s23, s1, s23
	s_sub_i32 s31, 0, s29
	v_mul_f32_e32 v1, 0x4f7ffffe, v1
	v_cvt_u32_f32_e32 v1, v1
	s_mul_i32 s22, s23, s22
	s_add_i32 s22, s22, s0
	s_abs_i32 s30, s22
	v_readfirstlane_b32 s33, v1
	s_mul_i32 s31, s31, s33
	s_mul_hi_u32 s31, s33, s31
	s_add_i32 s33, s33, s31
	s_mul_hi_u32 s31, s30, s33
	s_mul_i32 s33, s31, s29
	s_xor_b32 s0, s22, s2
	s_sub_i32 s30, s30, s33
	s_ashr_i32 s0, s0, 31
	s_add_i32 s33, s31, 1
	s_sub_i32 s34, s30, s29
	s_cmp_ge_u32 s30, s29
	s_cselect_b32 s31, s33, s31
	s_cselect_b32 s30, s34, s30
	s_add_i32 s33, s31, 1
	s_cmp_ge_u32 s30, s29
	s_cselect_b32 s29, s33, s31
	s_xor_b32 s29, s29, s0
	s_sub_i32 s0, s29, s0
	s_mul_i32 s2, s0, s2
	s_sub_i32 s2, s22, s2
	s_add_i32 s2, s2, s1
	s_sub_i32 s2, s2, s23
.LBB2_10:
	s_mov_b32 s29, s2
	s_mov_b32 s2, s0
.LBB2_11:
	s_waitcnt lgkmcnt(0)
	s_mul_i32 s0, s20, s3
	s_mul_i32 s1, s0, s5
	s_lshr_b32 s22, s1, 31
	s_add_i32 s1, s1, s22
	s_ashr_i32 s23, s1, 1
	s_ashr_i32 s1, s20, 31
	s_lshr_b32 s1, s1, 25
	s_add_i32 s1, s20, s1
	s_ashr_i32 s1, s1, 7
	s_mul_i32 s22, s1, s3
	s_add_i32 s1, s11, -1
	s_mul_i32 s11, s1, s20
	s_sub_i32 s6, s6, s11
	s_cmp_lt_i32 s3, s1
	s_cselect_b32 s3, s20, s6
	s_ashr_i32 s1, s0, 31
	s_lshl_b64 s[0:1], s[0:1], 1
	s_add_u32 s0, s12, s0
	s_addc_u32 s1, s13, s1
	s_ashr_i32 s6, s23, 31
	s_add_u32 s12, s14, s23
	s_addc_u32 s11, s15, s6
	s_ashr_i32 s23, s22, 31
	s_lshl_b64 s[14:15], s[22:23], 1
	s_add_u32 s20, s18, s14
	s_addc_u32 s18, s19, s15
	s_ashr_i32 s6, s8, 31
	s_lshr_b32 s6, s6, 26
	s_add_i32 s6, s8, s6
	s_ashr_i32 s14, s6, 6
	s_add_i32 s6, s3, 0x7f
	s_ashr_i32 s15, s6, 31
	v_lshrrev_b32_e32 v99, 1, v0
	s_lshr_b32 s15, s15, 25
	v_and_b32_e32 v22, 7, v0
	v_and_b32_e32 v1, 0x7c, v99
	s_add_i32 s6, s6, s15
	s_add_i32 s15, s5, -1
	v_lshl_or_b32 v102, s29, 7, v1
	v_bitop3_b32 v100, v99, v22, 4 bitop3:0x6c
	v_lshlrev_b32_e32 v1, 6, v1
	s_ashr_i32 s6, s6, 7
	s_mul_i32 s15, s10, s15
	v_lshl_or_b32 v24, v100, 3, v1
	v_lshlrev_b32_e32 v1, 1, v0
	s_add_i32 s19, s6, s15
	s_lshl_b32 s6, s2, 7
	v_and_b32_e32 v167, 2, v1
	v_add_u32_e32 v1, s6, v99
	v_lshlrev_b32_e32 v3, 4, v167
	v_lshl_or_b32 v18, v1, 6, v3
	v_lshrrev_b32_e32 v1, 3, v0
	v_bfe_u32 v3, v0, 1, 2
	v_lshlrev_b32_e32 v4, 2, v167
	v_bfe_u32 v26, v0, 3, 4
	v_or_b32_e32 v25, v4, v3
	v_bitop3_b32 v27, v4, v26, v3 bitop3:0x36
	v_lshlrev_b32_e32 v1, 8, v1
	v_lshrrev_b32_e32 v4, 2, v0
	v_lshl_or_b32 v28, v27, 4, v1
	v_and_b32_e32 v1, 15, v0
	v_and_b32_e32 v166, 48, v4
	;; [unrolled: 1-line block ×3, first 2 shown]
	v_or_b32_e32 v4, v166, v1
	v_lshrrev_b32_e32 v29, 3, v3
	v_lshrrev_b32_e32 v3, 2, v3
	;; [unrolled: 1-line block ×3, first 2 shown]
	v_and_b32_e32 v6, 3, v0
	v_bitop3_b32 v3, v5, v3, v6 bitop3:0x1e
	v_lshlrev_b32_e32 v5, 7, v5
	s_ashr_i32 s2, s21, 31
	v_lshlrev_b32_e32 v98, 3, v22
	v_mul_lo_u32 v103, v102, s7
	v_lshl_or_b32 v169, v3, 3, v5
	s_lshr_b32 s2, s2, 29
	v_or_b32_e32 v3, s6, v4
	s_mul_i32 s13, s26, s7
	s_lshl_b32 s8, s5, 6
	v_add_u32_e32 v2, v103, v98
	v_and_b32_e32 v23, 4, v99
	v_mov_b32_e32 v168, 8
	v_bitop3_b32 v30, v29, v0, 7 bitop3:0x78
	s_add_i32 s21, s21, s2
	v_mul_lo_u32 v170, v3, s10
	s_ashr_i32 s30, s21, 3
	; sched_barrier mask(0x00000000)
	v_add_u32_e32 v10, s7, v2
	s_add_i32 s3, s3, s13
	v_lshlrev_b32_e32 v11, 1, v10
	v_add_u32_e32 v10, s7, v10
	s_lshl_b32 s2, s3, 1
	s_and_b32 s1, s1, 0xffff
	s_mov_b32 s3, 0x20000
	v_lshlrev_b32_e32 v104, 1, v2
	v_lshlrev_b32_e32 v19, 1, v10
	v_add_u32_e32 v31, s7, v10
	v_or_b32_e32 v33, 1, v167
	buffer_load_dwordx4 v[2:5], v104, s[0:3], 0 offen
	buffer_load_dwordx4 v[6:9], v11, s[0:3], 0 offen
	v_lshlrev_b32_e32 v20, 1, v31
	buffer_load_dwordx4 v[10:13], v19, s[0:3], 0 offen
	buffer_load_dwordx4 v[14:17], v20, s[0:3], 0 offen
	v_sub_u32_e32 v19, v33, v167
	s_mul_i32 s13, s5, s14
	v_lshlrev_b32_e32 v34, 4, v19
	v_ashrrev_i32_e32 v32, 1, v18
	s_lshl_b32 s14, s13, 5
	s_and_b32 s13, s11, 0xffff
	s_mov_b32 s15, s3
	v_add_u32_e32 v35, v18, v34
	v_ashrrev_i32_e32 v36, 1, v35
	buffer_load_dwordx2 v[18:19], v32, s[12:15], 0 offen
	buffer_load_dwordx2 v[20:21], v36, s[12:15], 0 offen
	s_lshl_b32 s19, s19, 1
	s_and_b32 s21, s18, 0xffff
	v_lshlrev_b32_e32 v32, 1, v170
	s_mov_b32 s22, s19
	s_mov_b32 s23, s3
	buffer_load_ushort v85, v32, s[20:23], 0 offen
	s_lshl_b32 s10, s10, 7
	v_bitop3_b32 v37, v23, v22, 1 bitop3:0x36
	v_bitop3_b32 v101, v23, v22, 2 bitop3:0x36
	;; [unrolled: 1-line block ×3, first 2 shown]
	v_sub_u32_e32 v26, v167, v33
	v_add_u32_e32 v33, s10, v32
	v_bitop3_b32 v23, v23, v22, 3 bitop3:0x36
	v_sub_u32_e32 v38, v37, v100
	buffer_load_ushort v105, v33, s[20:23], 0 offen
	v_sub_u32_e32 v32, v101, v37
	v_sub_u32_e32 v37, v23, v101
	;; [unrolled: 1-line block ×3, first 2 shown]
	v_lshlrev_b32_e32 v172, 3, v38
	v_lshlrev_b32_e32 v106, 3, v32
	s_mul_i32 s11, s7, -3
	v_lshlrev_b32_e32 v36, 1, v24
	v_sub_u32_e32 v23, v100, v23
	v_lshl_add_u32 v26, v26, 4, s8
	v_lshlrev_b32_e32 v33, 3, v37
	v_lshl_add_u32 v25, v25, 4, v28
	v_add3_u32 v107, v106, v172, 64
	s_movk_i32 s35, 0xffc0
	v_lshrrev_b32_e32 v171, 1, v28
	v_lshl_add_u32 v27, v38, 4, v36
	v_lshlrev_b32_e32 v32, 4, v32
	v_lshlrev_b32_e32 v23, 3, v23
	v_add3_u32 v28, s11, 64, v31
	v_ashrrev_i32_e32 v173, 1, v25
	v_add_u32_e32 v25, v35, v26
	v_add3_u32 v24, v107, v24, v33
	v_lshlrev_b32_e32 v37, 4, v37
	v_add3_u32 v31, v27, s28, v32
	v_lshlrev_b32_e32 v33, 1, v28
	v_add_u32_e32 v28, s7, v28
	v_add3_u32 v174, v24, v23, s35
	v_ashrrev_i32_e32 v24, 1, v25
	v_add_u32_e32 v25, v25, v34
	v_and_b32_e32 v39, 0x7ff8, v171
	v_add3_u32 v32, v31, s28, v37
	v_ashrrev_i32_e32 v34, 1, v25
	buffer_load_dwordx2 v[162:163], v24, s[12:15], 0 offen
	buffer_load_dwordx2 v[164:165], v34, s[12:15], 0 offen
	v_lshlrev_b32_e32 v23, 1, v28
	v_add_u32_e32 v179, v25, v26
	s_mov_b32 s11, 0xe408
	s_movk_i32 s18, 0x2c00
	v_mov_b32_e32 v177, 0xd480
	v_or_b32_e32 v178, 0x800, v169
	s_mov_b32 s34, s14
	s_waitcnt vmcnt(9)
	ds_write_b128 v36, v[2:5]
	s_waitcnt vmcnt(8)
	ds_write_b128 v27, v[6:9] offset:128
	s_waitcnt vmcnt(7)
	ds_write_b128 v31, v[10:13] offset:128
	;; [unrolled: 2-line block ×3, first 2 shown]
	s_waitcnt vmcnt(5)
	ds_write_b64 v39, v[18:19] offset:16384
	s_waitcnt vmcnt(4)
	ds_write_b64 v173, v[20:21] offset:16384
	v_add_u32_e32 v2, s7, v28
	v_lshlrev_b32_e32 v3, 1, v2
	buffer_load_dwordx4 v[34:37], v33, s[0:3], 0 offen
	buffer_load_dwordx4 v[38:41], v23, s[0:3], 0 offen
	v_add_lshl_u32 v2, v2, s7, 1
	buffer_load_dwordx4 v[50:53], v3, s[0:3], 0 offen
	buffer_load_dwordx4 v[54:57], v2, s[0:3], 0 offen
	v_lshlrev_b32_e32 v2, 7, v1
	v_lshl_or_b32 v175, v30, 4, v2
	v_bitop3_b32 v2, v29, v22, 1 bitop3:0x36
	v_sub_u32_e32 v2, v2, v30
	s_waitcnt lgkmcnt(0)
	s_barrier
	v_lshl_add_u32 v176, v2, 4, v175
	ds_read_b128 v[78:81], v175
	ds_read_b128 v[62:65], v175 offset:2048
	ds_read_b128 v[70:73], v176
	ds_read_b128 v[58:61], v176 offset:2048
	ds_read_b128 v[46:49], v175 offset:4096
	ds_read_b128 v[26:29], v175 offset:6144
	ds_read_b128 v[42:45], v176 offset:4096
	ds_read_b128 v[30:33], v176 offset:6144
	ds_read_b128 v[18:21], v175 offset:8192
	ds_read_b128 v[6:9], v175 offset:10240
	ds_read_b128 v[22:25], v176 offset:8192
	ds_read_b128 v[74:77], v176 offset:10240
	ds_read2st64_b64 v[94:97], v169 offset0:32 offset1:36
	ds_read_b128 v[10:13], v175 offset:12288
	ds_read_b128 v[66:69], v175 offset:14336
	;; [unrolled: 1-line block ×4, first 2 shown]
	s_waitcnt lgkmcnt(4)
	v_and_b32_e32 v82, 0xf000f, v94
	v_or_b32_e32 v82, 0x64006400, v82
	v_and_b32_e32 v83, 0xf000f0, v94
	v_or_b32_e32 v83, 0x64006400, v83
	v_pk_add_f16 v82, v82, s11 op_sel_hi:[1,0]
	v_pk_fma_f16 v83, v83, s18, v177 op_sel_hi:[1,0,0]
	s_waitcnt vmcnt(7)
	v_pk_mul_f16 v86, v85, v82 op_sel_hi:[0,1]
	v_ashrrev_i32_e32 v82, 8, v94
	v_pk_mul_f16 v87, v85, v83 op_sel_hi:[0,1]
	v_and_b32_e32 v83, 0xf000f, v82
	v_and_b32_e32 v82, 0xf000f0, v82
	v_or_b32_e32 v83, 0x64006400, v83
	v_or_b32_e32 v82, 0x64006400, v82
	v_pk_add_f16 v83, v83, s11 op_sel_hi:[1,0]
	v_pk_fma_f16 v82, v82, s18, v177 op_sel_hi:[1,0,0]
	v_ashrrev_i32_e32 v84, 8, v95
	v_pk_mul_f16 v88, v85, v83 op_sel_hi:[0,1]
	v_pk_mul_f16 v89, v85, v82 op_sel_hi:[0,1]
	v_and_b32_e32 v82, 0xf000f, v95
	v_and_b32_e32 v83, 0xf000f0, v95
	;; [unrolled: 1-line block ×4, first 2 shown]
	v_ashrrev_i32_e32 v92, 8, v96
	v_or_b32_e32 v82, 0x64006400, v82
	v_or_b32_e32 v83, 0x64006400, v83
	;; [unrolled: 1-line block ×4, first 2 shown]
	v_and_b32_e32 v93, 0xf000f, v92
	v_and_b32_e32 v92, 0xf000f0, v92
	v_pk_add_f16 v82, v82, s11 op_sel_hi:[1,0]
	v_pk_fma_f16 v83, v83, s18, v177 op_sel_hi:[1,0,0]
	v_pk_add_f16 v90, v90, s11 op_sel_hi:[1,0]
	v_pk_fma_f16 v91, v84, s18, v177 op_sel_hi:[1,0,0]
	v_or_b32_e32 v93, 0x64006400, v93
	v_or_b32_e32 v92, 0x64006400, v92
	v_pk_mul_f16 v82, v85, v82 op_sel_hi:[0,1]
	v_pk_mul_f16 v83, v85, v83 op_sel_hi:[0,1]
	;; [unrolled: 1-line block ×4, first 2 shown]
	v_and_b32_e32 v90, 0xf000f, v96
	v_and_b32_e32 v91, 0xf000f0, v96
	v_pk_add_f16 v93, v93, s11 op_sel_hi:[1,0]
	v_pk_fma_f16 v94, v92, s18, v177 op_sel_hi:[1,0,0]
	v_ashrrev_i32_e32 v96, 8, v97
	s_waitcnt vmcnt(6)
	v_pk_mul_f16 v92, v105, v93 op_sel_hi:[0,1]
	v_pk_mul_f16 v93, v105, v94 op_sel_hi:[0,1]
	v_and_b32_e32 v94, 0xf000f, v97
	v_and_b32_e32 v95, 0xf000f0, v97
	;; [unrolled: 1-line block ×4, first 2 shown]
	v_or_b32_e32 v90, 0x64006400, v90
	v_or_b32_e32 v91, 0x64006400, v91
	;; [unrolled: 1-line block ×6, first 2 shown]
	v_pk_add_f16 v90, v90, s11 op_sel_hi:[1,0]
	v_pk_fma_f16 v91, v91, s18, v177 op_sel_hi:[1,0,0]
	v_pk_add_f16 v94, v94, s11 op_sel_hi:[1,0]
	v_pk_fma_f16 v95, v95, s18, v177 op_sel_hi:[1,0,0]
	;; [unrolled: 2-line block ×3, first 2 shown]
	v_pk_mul_f16 v90, v105, v90 op_sel_hi:[0,1]
	v_pk_mul_f16 v91, v105, v91 op_sel_hi:[0,1]
	v_pk_mul_f16 v94, v105, v94 op_sel_hi:[0,1]
	v_pk_mul_f16 v95, v105, v95 op_sel_hi:[0,1]
	v_pk_mul_f16 v96, v105, v97 op_sel_hi:[0,1]
	v_pk_mul_f16 v97, v105, v108 op_sel_hi:[0,1]
	; sched_barrier mask(0x00000000)
	v_or_b32_e32 v99, 3, v99
	v_bitop3_b32 v99, v99, 7, v0 bitop3:0x48
	v_sub_u32_e32 v101, v99, v101
	v_lshlrev_b32_e32 v105, 3, v101
	v_sub_u32_e32 v99, v100, v99
	v_lshlrev_b32_e32 v99, 3, v99
	v_add_u32_e32 v100, v107, v105
	v_add3_u32 v180, v100, v99, s35
	v_or_b32_e32 v99, 3, v102
	v_mad_u64_u32 v[100:101], s[14:15], s7, v99, v[98:99]
	v_mov_b32_e32 v99, 0x100
	v_lshl_add_u32 v181, v100, 1, v99
	v_or_b32_e32 v100, 2, v102
	v_mad_u64_u32 v[100:101], s[14:15], s7, v100, v[98:99]
	v_add3_u32 v98, v103, s7, v98
	s_max_i32 s22, s30, 2
	v_lshl_add_u32 v183, v98, 1, v99
	v_mov_b32_e32 v98, 0
	v_lshl_add_u32 v182, v100, 1, v99
	v_add_u32_e32 v184, 0x100, v104
	s_add_i32 s7, s22, -1
	v_lshlrev_b32_e32 v185, 1, v106
	v_lshlrev_b32_e32 v186, 1, v105
	s_mov_b32 s14, s34
	s_mov_b32 s15, s3
	;; [unrolled: 1-line block ×3, first 2 shown]
	v_mov_b32_e32 v99, v98
	v_mov_b32_e32 v100, v98
	;; [unrolled: 1-line block ×63, first 2 shown]
	v_or_b32_e32 v187, 9, v167
	v_mov_b32_e32 v188, 2
.LBB2_12:                               ; =>This Inner Loop Header: Depth=1
	v_lshlrev_b32_e32 v189, 1, v174
	s_waitcnt lgkmcnt(0)
	s_barrier
	s_waitcnt vmcnt(3)
	ds_write_b128 v189, v[34:37]
	v_mfma_f32_16x16x32_f16 v[98:101], v[66:69], v[90:93], v[98:101]
	buffer_load_dwordx4 v[34:37], v184, s[0:3], 0 offen
	v_lshl_add_u32 v189, v172, 1, v189
	v_add_u32_e64 v192, 2, s27
	v_mfma_f32_16x16x32_f16 v[158:161], v[78:81], v[86:89], v[158:161]
	s_waitcnt vmcnt(3)
	ds_write_b128 v189, v[38:41] offset:128
	v_sub_u32_e32 v191, v187, v168
	v_lshrrev_b32_e32 v190, 31, v179
	v_mfma_f32_16x16x32_f16 v[98:101], v[2:5], v[94:97], v[98:101]
	buffer_load_dwordx4 v[38:41], v183, s[0:3], 0 offen
	v_sub_u32_e32 v193, v167, v191
	v_lshlrev_b32_e32 v193, 4, v193
	v_mfma_f32_16x16x32_f16 v[158:161], v[70:73], v[82:85], v[158:161]
	s_andn2_b32 s19, 1, s27
	v_add_u32_e32 v174, v174, v180
	; sched_group_barrier mask(0x00000200) size(1) SyncID(0)
	; sched_group_barrier mask(0x00000008) size(1) SyncID(0)
	;; [unrolled: 1-line block ×8, first 2 shown]
	v_mfma_f32_16x16x32_f16 v[78:81], v[78:81], v[90:93], v[154:157]
	v_mfma_f32_16x16x32_f16 v[154:157], v[70:73], v[94:97], v[78:81]
	s_nop 6
	v_add3_u32 v79, v189, s28, v185
	s_waitcnt vmcnt(3)
	ds_write_b128 v79, v[50:53] offset:128
	v_mfma_f32_16x16x32_f16 v[70:73], v[62:65], v[86:89], v[150:153]
	v_lshlrev_b32_e32 v78, 1, v170
	v_sub_u32_e32 v81, v191, v167
	v_add_u32_e32 v80, v179, v190
	v_mfma_f32_16x16x32_f16 v[150:153], v[58:61], v[82:85], v[70:73]
	v_add_u32_e32 v170, s19, v170
	s_nop 2
	v_add3_u32 v71, v79, s28, v186
	s_waitcnt vmcnt(2)
	ds_write_b128 v71, v[54:57] offset:128
	v_add_u32_e32 v71, s10, v78
	ds_write_b64 v171, v[162:163] offset:16384
	ds_write_b64 v173, v[164:165] offset:16384
	buffer_load_ushort v194, v71, s[20:23], 0 offen
	buffer_load_dwordx4 v[50:53], v182, s[0:3], 0 offen
	v_mfma_f32_16x16x32_f16 v[62:65], v[62:65], v[90:93], v[146:149]
	buffer_load_ushort v189, v78, s[20:23], 0 offen
	v_sub_u32_e32 v70, v192, v188
	v_add_u32_e64 v188, 3, s27
	v_mfma_f32_16x16x32_f16 v[146:149], v[58:61], v[94:97], v[62:65]
	v_sub_u32_e32 v192, v188, v192
	; sched_group_barrier mask(0x00000200) size(1) SyncID(0)
	; sched_group_barrier mask(0x00000008) size(1) SyncID(0)
	;; [unrolled: 1-line block ×13, first 2 shown]
	v_mfma_f32_16x16x32_f16 v[58:61], v[46:49], v[86:89], v[142:145]
	s_nop 1
	v_mul_lo_u32 v63, v70, s8
	v_lshlrev_b32_e32 v64, 4, v81
	v_add3_u32 v179, v63, v179, v64
	buffer_load_dwordx4 v[54:57], v181, s[0:3], 0 offen
	v_mfma_f32_16x16x32_f16 v[142:145], v[42:45], v[82:85], v[58:61]
	v_ashrrev_i32_e32 v62, 1, v80
	buffer_load_dwordx2 v[162:163], v62, s[12:15], 0 offen
	; sched_group_barrier mask(0x00000008) size(1) SyncID(0)
	; sched_group_barrier mask(0x00000020) size(1) SyncID(0)
	;; [unrolled: 1-line block ×3, first 2 shown]
	s_nop 0
	v_lshrrev_b32_e32 v58, 31, v179
	v_add_u32_e32 v58, v179, v58
	v_ashrrev_i32_e32 v58, 1, v58
	buffer_load_dwordx2 v[164:165], v58, s[12:15], 0 offen
	s_waitcnt lgkmcnt(0)
	s_barrier
	ds_read_b128 v[78:81], v175
	v_mfma_f32_16x16x32_f16 v[46:49], v[46:49], v[90:93], v[138:141]
	ds_read_b128 v[70:73], v176
	; sched_group_barrier mask(0x00000100) size(1) SyncID(0)
	; sched_group_barrier mask(0x00000008) size(1) SyncID(0)
	;; [unrolled: 1-line block ×3, first 2 shown]
	v_mfma_f32_16x16x32_f16 v[138:141], v[42:45], v[94:97], v[46:49]
	ds_read_b128 v[62:65], v175 offset:2048
	; sched_group_barrier mask(0x00000008) size(1) SyncID(0)
	; sched_group_barrier mask(0x00000100) size(1) SyncID(0)
	v_mfma_f32_16x16x32_f16 v[42:45], v[26:29], v[86:89], v[134:137]
	ds_read_b128 v[58:61], v176 offset:2048
	; sched_group_barrier mask(0x00000008) size(1) SyncID(0)
	; sched_group_barrier mask(0x00000100) size(1) SyncID(0)
	v_mfma_f32_16x16x32_f16 v[134:137], v[30:33], v[82:85], v[42:45]
	s_nop 1
	ds_read_b128 v[46:49], v175 offset:4096
	; sched_group_barrier mask(0x00000008) size(1) SyncID(0)
	; sched_group_barrier mask(0x00000100) size(1) SyncID(0)
	v_mfma_f32_16x16x32_f16 v[26:29], v[26:29], v[90:93], v[130:133]
	s_nop 1
	ds_read_b128 v[42:45], v176 offset:4096
	; sched_group_barrier mask(0x00000008) size(1) SyncID(0)
	; sched_group_barrier mask(0x00000100) size(1) SyncID(0)
	v_mfma_f32_16x16x32_f16 v[130:133], v[30:33], v[94:97], v[26:29]
	ds_read_b128 v[30:33], v176 offset:6144
	; sched_group_barrier mask(0x00000008) size(1) SyncID(0)
	; sched_group_barrier mask(0x00000100) size(1) SyncID(0)
	v_mfma_f32_16x16x32_f16 v[26:29], v[18:21], v[86:89], v[122:125]
	ds_read_b64 v[190:191], v169 offset:16384
	; sched_group_barrier mask(0x00000008) size(1) SyncID(0)
	; sched_group_barrier mask(0x00000100) size(1) SyncID(0)
	s_waitcnt lgkmcnt(0)
	v_and_b32_e32 v195, 0xf000f, v190
	v_mfma_f32_16x16x32_f16 v[122:125], v[22:25], v[82:85], v[26:29]
	v_and_b32_e32 v196, 0xf000f0, v190
	v_ashrrev_i32_e32 v190, 8, v190
	v_and_b32_e32 v197, 0xf000f, v191
	s_nop 0
	ds_read_b128 v[26:29], v175 offset:6144
	v_mfma_f32_16x16x32_f16 v[18:21], v[18:21], v[90:93], v[118:121]
	v_and_b32_e32 v198, 0xf000f0, v191
	v_ashrrev_i32_e32 v191, 8, v191
	v_and_b32_e32 v199, 0xf000f, v190
	v_mfma_f32_16x16x32_f16 v[118:121], v[22:25], v[94:97], v[18:21]
	v_and_b32_e32 v190, 0xf000f0, v190
	v_and_b32_e32 v200, 0xf000f, v191
	;; [unrolled: 1-line block ×3, first 2 shown]
	s_nop 0
	ds_read_b128 v[18:21], v175 offset:8192
	v_mfma_f32_16x16x32_f16 v[114:117], v[6:9], v[86:89], v[114:117]
	ds_read_b128 v[22:25], v176 offset:8192
	v_or_b32_e32 v195, 0x64006400, v195
	v_or_b32_e32 v196, 0x64006400, v196
	v_mfma_f32_16x16x32_f16 v[114:117], v[74:77], v[82:85], v[114:117]
	v_or_b32_e32 v197, 0x64006400, v197
	v_or_b32_e32 v198, 0x64006400, v198
	;; [unrolled: 1-line block ×3, first 2 shown]
	v_mfma_f32_16x16x32_f16 v[110:113], v[6:9], v[90:93], v[110:113]
	ds_read_b128 v[6:9], v175 offset:10240
	v_or_b32_e32 v190, 0x64006400, v190
	v_or_b32_e32 v200, 0x64006400, v200
	v_mfma_f32_16x16x32_f16 v[110:113], v[74:77], v[94:97], v[110:113]
	v_mul_lo_u32 v74, v192, s8
	v_add3_u32 v179, v193, v74, v179
	ds_read_b128 v[74:77], v176 offset:10240
	v_mfma_f32_16x16x32_f16 v[126:129], v[10:13], v[86:89], v[126:129]
	ds_read_b64 v[192:193], v178 offset:16384
	v_or_b32_e32 v191, 0x64006400, v191
	v_pk_add_f16 v195, v195, s11 op_sel_hi:[1,0]
	v_mfma_f32_16x16x32_f16 v[126:129], v[14:17], v[82:85], v[126:129]
	v_pk_fma_f16 v196, v196, s18, v177 op_sel_hi:[1,0,0]
	v_pk_add_f16 v197, v197, s11 op_sel_hi:[1,0]
	v_pk_fma_f16 v198, v198, s18, v177 op_sel_hi:[1,0,0]
	v_mfma_f32_16x16x32_f16 v[66:69], v[66:69], v[86:89], v[106:109]
	s_waitcnt lgkmcnt(0)
	v_and_b32_e32 v86, 0xf000f, v192
	v_ashrrev_i32_e32 v88, 8, v192
	v_or_b32_e32 v86, 0x64006400, v86
	v_and_b32_e32 v106, 0xf000f0, v193
	v_ashrrev_i32_e32 v107, 8, v193
	v_and_b32_e32 v108, 0xf000f, v88
	v_or_b32_e32 v106, 0x64006400, v106
	v_and_b32_e32 v87, 0xf000f0, v192
	v_and_b32_e32 v89, 0xf000f, v193
	;; [unrolled: 1-line block ×4, first 2 shown]
	v_pk_add_f16 v201, v86, s11 op_sel_hi:[1,0]
	v_or_b32_e32 v86, 0x64006400, v108
	v_pk_fma_f16 v204, v106, s18, v177 op_sel_hi:[1,0,0]
	v_mfma_f32_16x16x32_f16 v[106:109], v[2:5], v[82:85], v[66:69]
	v_or_b32_e32 v87, 0x64006400, v87
	v_and_b32_e32 v88, 0xf000f0, v88
	v_or_b32_e32 v89, 0x64006400, v89
	v_mfma_f32_16x16x32_f16 v[66:69], v[10:13], v[90:93], v[102:105]
	ds_read_b128 v[10:13], v175 offset:12288
	ds_read_b128 v[2:5], v176 offset:14336
	v_pk_fma_f16 v202, v87, s18, v177 op_sel_hi:[1,0,0]
	v_mfma_f32_16x16x32_f16 v[102:105], v[14:17], v[94:97], v[66:69]
	ds_read_b128 v[14:17], v176 offset:12288
	v_or_b32_e32 v87, 0x64006400, v88
	v_or_b32_e32 v82, 0x64006400, v192
	s_nop 0
	ds_read_b128 v[66:69], v175 offset:14336
	v_or_b32_e32 v83, 0x64006400, v193
	v_pk_add_f16 v199, v199, s11 op_sel_hi:[1,0]
	v_pk_fma_f16 v190, v190, s18, v177 op_sel_hi:[1,0,0]
	v_pk_add_f16 v200, v200, s11 op_sel_hi:[1,0]
	v_pk_fma_f16 v191, v191, s18, v177 op_sel_hi:[1,0,0]
	v_pk_add_f16 v203, v89, s11 op_sel_hi:[1,0]
	v_pk_add_f16 v92, v86, s11 op_sel_hi:[1,0]
	v_pk_fma_f16 v93, v87, s18, v177 op_sel_hi:[1,0,0]
	v_pk_add_f16 v192, v82, s11 op_sel_hi:[1,0]
	v_pk_fma_f16 v193, v83, s18, v177 op_sel_hi:[1,0,0]
	s_waitcnt vmcnt(3)
	v_pk_mul_f16 v86, v189, v195 op_sel_hi:[0,1]
	v_pk_mul_f16 v87, v189, v196 op_sel_hi:[0,1]
	;; [unrolled: 1-line block ×16, first 2 shown]
	; sched_group_barrier mask(0x00000008) size(1) SyncID(0)
	; sched_group_barrier mask(0x00000100) size(1) SyncID(0)
	;; [unrolled: 1-line block ×21, first 2 shown]
	; sched_barrier mask(0x00000000)
	s_add_i32 s27, s27, 1
	v_add_u32_e32 v168, 4, v168
	v_add_u32_e32 v187, 4, v187
	;; [unrolled: 1-line block ×5, first 2 shown]
	s_cmp_lg_u32 s7, s27
	v_add_u32_e32 v184, 0x80, v184
	s_cbranch_scc1 .LBB2_12
; %bb.13:
	v_mfma_f32_16x16x32_f16 v[50:53], v[62:65], v[86:89], v[150:153]
	s_lshl_b64 s[0:1], s[24:25], 1
	s_add_u32 s12, s16, s0
	s_addc_u32 s7, s17, s1
	s_waitcnt vmcnt(2)
	v_mfma_f32_16x16x32_f16 v[54:57], v[62:65], v[90:93], v[146:149]
	s_mul_i32 s0, s26, s9
	s_mul_hi_u32 s1, 0, s9
	s_add_i32 s8, s1, s0
	v_mfma_f32_16x16x32_f16 v[50:53], v[58:61], v[82:85], v[50:53]
	v_mfma_f32_16x16x32_f16 v[54:57], v[58:61], v[94:97], v[54:57]
	;; [unrolled: 1-line block ×21, first 2 shown]
	s_waitcnt lgkmcnt(3)
	v_mfma_f32_16x16x32_f16 v[6:9], v[10:13], v[86:89], v[126:129]
	v_mfma_f32_16x16x32_f16 v[22:25], v[74:77], v[82:85], v[18:21]
	s_waitcnt lgkmcnt(1)
	v_mfma_f32_16x16x32_f16 v[18:21], v[14:17], v[82:85], v[6:9]
	v_mfma_f32_16x16x32_f16 v[6:9], v[10:13], v[90:93], v[102:105]
	v_mfma_f32_16x16x32_f16 v[10:13], v[14:17], v[94:97], v[6:9]
	s_waitcnt lgkmcnt(0)
	v_mfma_f32_16x16x32_f16 v[6:9], v[66:69], v[86:89], v[106:109]
	v_mfma_f32_16x16x32_f16 v[14:17], v[66:69], v[90:93], v[98:101]
	;; [unrolled: 1-line block ×4, first 2 shown]
	; sched_barrier mask(0x00000000)
	s_nop 5
	v_lshlrev_b32_e32 v14, 2, v0
	v_lshrrev_b32_e32 v15, 4, v0
	v_and_b32_e32 v66, 60, v14
	v_or_b32_e32 v14, s6, v66
	v_lshl_or_b32 v67, s29, 7, v15
	v_mad_u64_u32 v[16:17], s[0:1], v67, s9, v[14:15]
	v_lshlrev_b32_e32 v1, 1, v1
	v_cvt_f16_f32_e32 v17, v34
	v_lshl_add_u32 v1, v166, 1, v1
	v_lshlrev_b32_e32 v0, 5, v0
	s_movk_i32 s0, 0x600
	v_and_or_b32 v34, v0, s0, v1
	v_cvt_f16_f32_e32 v0, v35
	v_cvt_f16_f32_e32 v1, v36
	;; [unrolled: 1-line block ×3, first 2 shown]
	s_waitcnt lgkmcnt(0)
	s_barrier
	ds_write_b16 v34, v17
	ds_write_b16 v34, v0 offset:128
	ds_write_b16 v34, v1 offset:256
	;; [unrolled: 1-line block ×3, first 2 shown]
	v_lshlrev_b32_e32 v0, 1, v66
	v_lshl_or_b32 v15, v15, 7, v0
	s_waitcnt lgkmcnt(0)
	s_barrier
	ds_read_b64 v[0:1], v15
	v_cmp_gt_i32_e32 vcc, s5, v14
	v_cmp_gt_i32_e64 s[2:3], s4, v67
	s_add_i32 s0, s5, s8
	s_lshl_b32 s14, s0, 1
	v_bfrev_b32_e32 v17, 1
	s_and_b64 s[0:1], s[2:3], vcc
	v_cndmask_b32_e64 v35, v17, 0, s[0:1]
	s_and_b32 s13, s7, 0xffff
	s_mov_b32 s15, 0x20000
	v_lshl_add_u32 v35, v16, 1, v35
	s_waitcnt lgkmcnt(0)
	buffer_store_dwordx2 v[0:1], v35, s[12:15], 0 offen
	v_cvt_f16_f32_e32 v0, v38
	v_cvt_f16_f32_e32 v1, v39
	;; [unrolled: 1-line block ×4, first 2 shown]
	v_or_b32_e32 v14, 64, v14
	s_waitcnt lgkmcnt(0)
	s_barrier
	ds_write_b16 v34, v0
	ds_write_b16 v34, v1 offset:128
	ds_write_b16 v34, v36 offset:256
	;; [unrolled: 1-line block ×3, first 2 shown]
	s_waitcnt lgkmcnt(0)
	s_barrier
	ds_read_b64 v[0:1], v15
	v_cmp_gt_i32_e64 s[0:1], s5, v14
	s_and_b64 s[2:3], s[2:3], s[0:1]
	v_add_u32_e32 v35, 64, v16
	v_cndmask_b32_e64 v14, v17, 0, s[2:3]
	v_lshl_add_u32 v14, v35, 1, v14
	s_waitcnt lgkmcnt(0)
	buffer_store_dwordx2 v[0:1], v14, s[12:15], 0 offen
	v_cvt_f16_f32_e32 v0, v54
	v_cvt_f16_f32_e32 v1, v55
	;; [unrolled: 1-line block ×4, first 2 shown]
	v_or_b32_e32 v14, 16, v67
	s_waitcnt lgkmcnt(0)
	s_barrier
	ds_write_b16 v34, v0
	ds_write_b16 v34, v1 offset:128
	ds_write_b16 v34, v36 offset:256
	;; [unrolled: 1-line block ×3, first 2 shown]
	s_waitcnt lgkmcnt(0)
	s_barrier
	ds_read_b64 v[0:1], v15
	v_cmp_gt_i32_e64 s[2:3], s4, v14
	s_lshl_b32 s5, s9, 4
	s_and_b64 s[6:7], s[2:3], s[0:1]
	v_add_u32_e32 v35, s5, v35
	v_cndmask_b32_e64 v14, v17, 0, s[6:7]
	v_lshl_add_u32 v14, v35, 1, v14
	s_waitcnt lgkmcnt(0)
	buffer_store_dwordx2 v[0:1], v14, s[12:15], 0 offen
	v_cvt_f16_f32_e32 v0, v50
	v_cvt_f16_f32_e32 v1, v51
	;; [unrolled: 1-line block ×4, first 2 shown]
	s_waitcnt lgkmcnt(0)
	s_barrier
	ds_write_b16 v34, v0
	ds_write_b16 v34, v1 offset:128
	ds_write_b16 v34, v14 offset:256
	;; [unrolled: 1-line block ×3, first 2 shown]
	s_waitcnt lgkmcnt(0)
	s_barrier
	ds_read_b64 v[0:1], v15
	s_and_b64 s[2:3], vcc, s[2:3]
	v_add_u32_e32 v14, s5, v16
	v_cndmask_b32_e64 v16, v17, 0, s[2:3]
	v_lshl_add_u32 v16, v14, 1, v16
	s_waitcnt lgkmcnt(0)
	buffer_store_dwordx2 v[0:1], v16, s[12:15], 0 offen
	v_cvt_f16_f32_e32 v0, v58
	v_cvt_f16_f32_e32 v1, v59
	;; [unrolled: 1-line block ×4, first 2 shown]
	v_or_b32_e32 v16, 32, v67
	s_waitcnt lgkmcnt(0)
	s_barrier
	ds_write_b16 v34, v0
	ds_write_b16 v34, v1 offset:128
	ds_write_b16 v34, v35 offset:256
	;; [unrolled: 1-line block ×3, first 2 shown]
	s_waitcnt lgkmcnt(0)
	s_barrier
	ds_read_b64 v[0:1], v15
	v_cmp_gt_i32_e64 s[2:3], s4, v16
	s_and_b64 s[6:7], vcc, s[2:3]
	v_add_u32_e32 v14, s5, v14
	v_cndmask_b32_e64 v16, v17, 0, s[6:7]
	v_lshl_add_u32 v16, v14, 1, v16
	s_waitcnt lgkmcnt(0)
	buffer_store_dwordx2 v[0:1], v16, s[12:15], 0 offen
	v_cvt_f16_f32_e32 v0, v42
	v_cvt_f16_f32_e32 v1, v43
	;; [unrolled: 1-line block ×4, first 2 shown]
	s_waitcnt lgkmcnt(0)
	s_barrier
	ds_write_b16 v34, v0
	ds_write_b16 v34, v1 offset:128
	ds_write_b16 v34, v16 offset:256
	;; [unrolled: 1-line block ×3, first 2 shown]
	s_waitcnt lgkmcnt(0)
	s_barrier
	ds_read_b64 v[0:1], v15
	s_and_b64 s[2:3], s[2:3], s[0:1]
	v_add_u32_e32 v16, 64, v14
	v_cndmask_b32_e64 v35, v17, 0, s[2:3]
	v_lshl_add_u32 v35, v16, 1, v35
	s_waitcnt lgkmcnt(0)
	buffer_store_dwordx2 v[0:1], v35, s[12:15], 0 offen
	v_cvt_f16_f32_e32 v0, v62
	v_cvt_f16_f32_e32 v1, v63
	;; [unrolled: 1-line block ×4, first 2 shown]
	v_or_b32_e32 v35, 48, v67
	s_waitcnt lgkmcnt(0)
	s_barrier
	ds_write_b16 v34, v0
	ds_write_b16 v34, v1 offset:128
	ds_write_b16 v34, v36 offset:256
	;; [unrolled: 1-line block ×3, first 2 shown]
	s_waitcnt lgkmcnt(0)
	s_barrier
	ds_read_b64 v[0:1], v15
	v_cmp_gt_i32_e64 s[2:3], s4, v35
	s_and_b64 s[6:7], s[2:3], s[0:1]
	v_add_u32_e32 v16, s5, v16
	v_cndmask_b32_e64 v35, v17, 0, s[6:7]
	v_lshl_add_u32 v16, v16, 1, v35
	s_waitcnt lgkmcnt(0)
	buffer_store_dwordx2 v[0:1], v16, s[12:15], 0 offen
	v_cvt_f16_f32_e32 v0, v46
	v_cvt_f16_f32_e32 v1, v47
	v_cvt_f16_f32_e32 v16, v48
	v_cvt_f16_f32_e32 v35, v49
	s_waitcnt lgkmcnt(0)
	s_barrier
	ds_write_b16 v34, v0
	ds_write_b16 v34, v1 offset:128
	ds_write_b16 v34, v16 offset:256
	;; [unrolled: 1-line block ×3, first 2 shown]
	s_waitcnt lgkmcnt(0)
	s_barrier
	ds_read_b64 v[0:1], v15
	s_and_b64 s[2:3], vcc, s[2:3]
	v_add_u32_e32 v14, s5, v14
	v_cndmask_b32_e64 v16, v17, 0, s[2:3]
	v_lshl_add_u32 v16, v14, 1, v16
	s_waitcnt lgkmcnt(0)
	buffer_store_dwordx2 v[0:1], v16, s[12:15], 0 offen
	v_cvt_f16_f32_e32 v0, v70
	v_cvt_f16_f32_e32 v1, v71
	;; [unrolled: 1-line block ×4, first 2 shown]
	v_or_b32_e32 v16, 64, v67
	s_waitcnt lgkmcnt(0)
	s_barrier
	ds_write_b16 v34, v0
	ds_write_b16 v34, v1 offset:128
	ds_write_b16 v34, v35 offset:256
	;; [unrolled: 1-line block ×3, first 2 shown]
	s_waitcnt lgkmcnt(0)
	s_barrier
	ds_read_b64 v[0:1], v15
	v_cmp_gt_i32_e64 s[2:3], s4, v16
	s_and_b64 s[6:7], vcc, s[2:3]
	v_add_u32_e32 v14, s5, v14
	v_cndmask_b32_e64 v16, v17, 0, s[6:7]
	v_lshl_add_u32 v16, v14, 1, v16
	s_waitcnt lgkmcnt(0)
	buffer_store_dwordx2 v[0:1], v16, s[12:15], 0 offen
	v_cvt_f16_f32_e32 v0, v30
	v_cvt_f16_f32_e32 v1, v31
	;; [unrolled: 1-line block ×4, first 2 shown]
	s_waitcnt lgkmcnt(0)
	s_barrier
	ds_write_b16 v34, v0
	ds_write_b16 v34, v1 offset:128
	ds_write_b16 v34, v16 offset:256
	;; [unrolled: 1-line block ×3, first 2 shown]
	s_waitcnt lgkmcnt(0)
	s_barrier
	ds_read_b64 v[0:1], v15
	s_and_b64 s[2:3], s[2:3], s[0:1]
	v_add_u32_e32 v16, 64, v14
	v_cndmask_b32_e64 v30, v17, 0, s[2:3]
	v_lshl_add_u32 v30, v16, 1, v30
	s_waitcnt lgkmcnt(0)
	buffer_store_dwordx2 v[0:1], v30, s[12:15], 0 offen
	v_cvt_f16_f32_e32 v0, v26
	v_cvt_f16_f32_e32 v1, v27
	v_cvt_f16_f32_e32 v26, v28
	v_cvt_f16_f32_e32 v27, v29
	v_or_b32_e32 v30, 0x50, v67
	s_waitcnt lgkmcnt(0)
	s_barrier
	ds_write_b16 v34, v0
	ds_write_b16 v34, v1 offset:128
	ds_write_b16 v34, v26 offset:256
	;; [unrolled: 1-line block ×3, first 2 shown]
	s_waitcnt lgkmcnt(0)
	s_barrier
	ds_read_b64 v[0:1], v15
	v_cmp_gt_i32_e64 s[2:3], s4, v30
	s_and_b64 s[6:7], s[2:3], s[0:1]
	v_add_u32_e32 v16, s5, v16
	v_cndmask_b32_e64 v26, v17, 0, s[6:7]
	v_lshl_add_u32 v16, v16, 1, v26
	s_waitcnt lgkmcnt(0)
	buffer_store_dwordx2 v[0:1], v16, s[12:15], 0 offen
	v_cvt_f16_f32_e32 v0, v22
	v_cvt_f16_f32_e32 v1, v23
	;; [unrolled: 1-line block ×4, first 2 shown]
	s_waitcnt lgkmcnt(0)
	s_barrier
	ds_write_b16 v34, v0
	ds_write_b16 v34, v1 offset:128
	ds_write_b16 v34, v16 offset:256
	;; [unrolled: 1-line block ×3, first 2 shown]
	s_waitcnt lgkmcnt(0)
	s_barrier
	ds_read_b64 v[0:1], v15
	s_and_b64 s[2:3], vcc, s[2:3]
	v_add_u32_e32 v14, s5, v14
	v_cndmask_b32_e64 v16, v17, 0, s[2:3]
	v_lshl_add_u32 v16, v14, 1, v16
	s_waitcnt lgkmcnt(0)
	buffer_store_dwordx2 v[0:1], v16, s[12:15], 0 offen
	v_cvt_f16_f32_e32 v0, v18
	v_cvt_f16_f32_e32 v1, v19
	;; [unrolled: 1-line block ×4, first 2 shown]
	v_or_b32_e32 v16, 0x60, v67
	s_waitcnt lgkmcnt(0)
	s_barrier
	ds_write_b16 v34, v0
	ds_write_b16 v34, v1 offset:128
	ds_write_b16 v34, v18 offset:256
	;; [unrolled: 1-line block ×3, first 2 shown]
	s_waitcnt lgkmcnt(0)
	s_barrier
	ds_read_b64 v[0:1], v15
	v_cmp_gt_i32_e64 s[2:3], s4, v16
	s_and_b64 s[6:7], vcc, s[2:3]
	v_add_u32_e32 v14, s5, v14
	v_cndmask_b32_e64 v16, v17, 0, s[6:7]
	v_lshl_add_u32 v16, v14, 1, v16
	s_waitcnt lgkmcnt(0)
	buffer_store_dwordx2 v[0:1], v16, s[12:15], 0 offen
	v_cvt_f16_f32_e32 v0, v10
	v_cvt_f16_f32_e32 v1, v11
	;; [unrolled: 1-line block ×4, first 2 shown]
	s_waitcnt lgkmcnt(0)
	s_barrier
	ds_write_b16 v34, v0
	ds_write_b16 v34, v1 offset:128
	ds_write_b16 v34, v10 offset:256
	;; [unrolled: 1-line block ×3, first 2 shown]
	s_waitcnt lgkmcnt(0)
	s_barrier
	ds_read_b64 v[0:1], v15
	s_and_b64 s[2:3], s[2:3], s[0:1]
	v_add_u32_e32 v10, 64, v14
	v_cndmask_b32_e64 v11, v17, 0, s[2:3]
	v_lshl_add_u32 v11, v10, 1, v11
	s_waitcnt lgkmcnt(0)
	buffer_store_dwordx2 v[0:1], v11, s[12:15], 0 offen
	v_cvt_f16_f32_e32 v0, v2
	v_cvt_f16_f32_e32 v1, v3
	;; [unrolled: 1-line block ×4, first 2 shown]
	v_or_b32_e32 v11, 0x70, v67
	s_waitcnt lgkmcnt(0)
	s_barrier
	ds_write_b16 v34, v0
	ds_write_b16 v34, v1 offset:128
	ds_write_b16 v34, v2 offset:256
	;; [unrolled: 1-line block ×3, first 2 shown]
	s_waitcnt lgkmcnt(0)
	s_barrier
	ds_read_b64 v[0:1], v15
	v_cmp_gt_i32_e64 s[2:3], s4, v11
	s_and_b64 s[0:1], s[2:3], s[0:1]
	v_add_u32_e32 v10, s5, v10
	v_cndmask_b32_e64 v2, v17, 0, s[0:1]
	v_lshl_add_u32 v2, v10, 1, v2
	s_waitcnt lgkmcnt(0)
	buffer_store_dwordx2 v[0:1], v2, s[12:15], 0 offen
	v_cvt_f16_f32_e32 v0, v6
	v_cvt_f16_f32_e32 v1, v7
	;; [unrolled: 1-line block ×4, first 2 shown]
	s_waitcnt lgkmcnt(0)
	s_barrier
	ds_write_b16 v34, v0
	ds_write_b16 v34, v1 offset:128
	ds_write_b16 v34, v2 offset:256
	;; [unrolled: 1-line block ×3, first 2 shown]
	s_waitcnt lgkmcnt(0)
	s_barrier
	ds_read_b64 v[0:1], v15
	s_and_b64 s[0:1], vcc, s[2:3]
	v_add_u32_e32 v2, s5, v14
	v_cndmask_b32_e64 v3, v17, 0, s[0:1]
	v_lshl_add_u32 v2, v2, 1, v3
	s_waitcnt lgkmcnt(0)
	buffer_store_dwordx2 v[0:1], v2, s[12:15], 0 offen
	s_endpgm
	.section	.rodata,"a",@progbits
	.p2align	6, 0x0
	.amdhsa_kernel _ZN2ck27kernel_gemm_xdl_cshuffle_v3INS_28GridwiseGemm_xdl_cshuffle_v3INS_13tensor_layout4gemm8RowMajorENS3_11ColumnMajorES4_DF16_NS_7pk_i4_tEfDF16_DF16_NS_16tensor_operation12element_wise11PassThroughES9_S9_LNS7_6device18GemmSpecializationE0ELi256ELi1ELi128ELi128ELi128ELi64ELi8ELi16ELi16ELi16ELi8ELi2ENS_8SequenceIJLi8ELi32ELi1EEEENSC_IJLi1ELi0ELi2EEEESE_Li2ELi8ELi8ELb0ELi0ENSC_IJLi2ELi128ELi1EEEESE_SE_Li2ELi16ELi16ELb0ELi0ELi1ELi1ENSC_IJLi1ELi16ELi1ELi16EEEELi4ELNS_26BlockGemmPipelineSchedulerE0ELNS_24BlockGemmPipelineVersionE2EDF16_DF16_Lb0ELb1EEELb1ELNS_25InMemoryDataOperationEnumE0ELi2ELNS_10TailNumberE10EEEvNT_8ArgumentE
		.amdhsa_group_segment_fixed_size 20480
		.amdhsa_private_segment_fixed_size 0
		.amdhsa_kernarg_size 120
		.amdhsa_user_sgpr_count 2
		.amdhsa_user_sgpr_dispatch_ptr 0
		.amdhsa_user_sgpr_queue_ptr 0
		.amdhsa_user_sgpr_kernarg_segment_ptr 1
		.amdhsa_user_sgpr_dispatch_id 0
		.amdhsa_user_sgpr_kernarg_preload_length 0
		.amdhsa_user_sgpr_kernarg_preload_offset 0
		.amdhsa_user_sgpr_private_segment_size 0
		.amdhsa_uses_dynamic_stack 0
		.amdhsa_enable_private_segment 0
		.amdhsa_system_sgpr_workgroup_id_x 1
		.amdhsa_system_sgpr_workgroup_id_y 0
		.amdhsa_system_sgpr_workgroup_id_z 1
		.amdhsa_system_sgpr_workgroup_info 0
		.amdhsa_system_vgpr_workitem_id 0
		.amdhsa_next_free_vgpr 205
		.amdhsa_next_free_sgpr 36
		.amdhsa_accum_offset 208
		.amdhsa_reserve_vcc 1
		.amdhsa_float_round_mode_32 0
		.amdhsa_float_round_mode_16_64 0
		.amdhsa_float_denorm_mode_32 3
		.amdhsa_float_denorm_mode_16_64 3
		.amdhsa_dx10_clamp 1
		.amdhsa_ieee_mode 1
		.amdhsa_fp16_overflow 0
		.amdhsa_tg_split 0
		.amdhsa_exception_fp_ieee_invalid_op 0
		.amdhsa_exception_fp_denorm_src 0
		.amdhsa_exception_fp_ieee_div_zero 0
		.amdhsa_exception_fp_ieee_overflow 0
		.amdhsa_exception_fp_ieee_underflow 0
		.amdhsa_exception_fp_ieee_inexact 0
		.amdhsa_exception_int_div_zero 0
	.end_amdhsa_kernel
	.section	.text._ZN2ck27kernel_gemm_xdl_cshuffle_v3INS_28GridwiseGemm_xdl_cshuffle_v3INS_13tensor_layout4gemm8RowMajorENS3_11ColumnMajorES4_DF16_NS_7pk_i4_tEfDF16_DF16_NS_16tensor_operation12element_wise11PassThroughES9_S9_LNS7_6device18GemmSpecializationE0ELi256ELi1ELi128ELi128ELi128ELi64ELi8ELi16ELi16ELi16ELi8ELi2ENS_8SequenceIJLi8ELi32ELi1EEEENSC_IJLi1ELi0ELi2EEEESE_Li2ELi8ELi8ELb0ELi0ENSC_IJLi2ELi128ELi1EEEESE_SE_Li2ELi16ELi16ELb0ELi0ELi1ELi1ENSC_IJLi1ELi16ELi1ELi16EEEELi4ELNS_26BlockGemmPipelineSchedulerE0ELNS_24BlockGemmPipelineVersionE2EDF16_DF16_Lb0ELb1EEELb1ELNS_25InMemoryDataOperationEnumE0ELi2ELNS_10TailNumberE10EEEvNT_8ArgumentE,"axG",@progbits,_ZN2ck27kernel_gemm_xdl_cshuffle_v3INS_28GridwiseGemm_xdl_cshuffle_v3INS_13tensor_layout4gemm8RowMajorENS3_11ColumnMajorES4_DF16_NS_7pk_i4_tEfDF16_DF16_NS_16tensor_operation12element_wise11PassThroughES9_S9_LNS7_6device18GemmSpecializationE0ELi256ELi1ELi128ELi128ELi128ELi64ELi8ELi16ELi16ELi16ELi8ELi2ENS_8SequenceIJLi8ELi32ELi1EEEENSC_IJLi1ELi0ELi2EEEESE_Li2ELi8ELi8ELb0ELi0ENSC_IJLi2ELi128ELi1EEEESE_SE_Li2ELi16ELi16ELb0ELi0ELi1ELi1ENSC_IJLi1ELi16ELi1ELi16EEEELi4ELNS_26BlockGemmPipelineSchedulerE0ELNS_24BlockGemmPipelineVersionE2EDF16_DF16_Lb0ELb1EEELb1ELNS_25InMemoryDataOperationEnumE0ELi2ELNS_10TailNumberE10EEEvNT_8ArgumentE,comdat
.Lfunc_end2:
	.size	_ZN2ck27kernel_gemm_xdl_cshuffle_v3INS_28GridwiseGemm_xdl_cshuffle_v3INS_13tensor_layout4gemm8RowMajorENS3_11ColumnMajorES4_DF16_NS_7pk_i4_tEfDF16_DF16_NS_16tensor_operation12element_wise11PassThroughES9_S9_LNS7_6device18GemmSpecializationE0ELi256ELi1ELi128ELi128ELi128ELi64ELi8ELi16ELi16ELi16ELi8ELi2ENS_8SequenceIJLi8ELi32ELi1EEEENSC_IJLi1ELi0ELi2EEEESE_Li2ELi8ELi8ELb0ELi0ENSC_IJLi2ELi128ELi1EEEESE_SE_Li2ELi16ELi16ELb0ELi0ELi1ELi1ENSC_IJLi1ELi16ELi1ELi16EEEELi4ELNS_26BlockGemmPipelineSchedulerE0ELNS_24BlockGemmPipelineVersionE2EDF16_DF16_Lb0ELb1EEELb1ELNS_25InMemoryDataOperationEnumE0ELi2ELNS_10TailNumberE10EEEvNT_8ArgumentE, .Lfunc_end2-_ZN2ck27kernel_gemm_xdl_cshuffle_v3INS_28GridwiseGemm_xdl_cshuffle_v3INS_13tensor_layout4gemm8RowMajorENS3_11ColumnMajorES4_DF16_NS_7pk_i4_tEfDF16_DF16_NS_16tensor_operation12element_wise11PassThroughES9_S9_LNS7_6device18GemmSpecializationE0ELi256ELi1ELi128ELi128ELi128ELi64ELi8ELi16ELi16ELi16ELi8ELi2ENS_8SequenceIJLi8ELi32ELi1EEEENSC_IJLi1ELi0ELi2EEEESE_Li2ELi8ELi8ELb0ELi0ENSC_IJLi2ELi128ELi1EEEESE_SE_Li2ELi16ELi16ELb0ELi0ELi1ELi1ENSC_IJLi1ELi16ELi1ELi16EEEELi4ELNS_26BlockGemmPipelineSchedulerE0ELNS_24BlockGemmPipelineVersionE2EDF16_DF16_Lb0ELb1EEELb1ELNS_25InMemoryDataOperationEnumE0ELi2ELNS_10TailNumberE10EEEvNT_8ArgumentE
                                        ; -- End function
	.set _ZN2ck27kernel_gemm_xdl_cshuffle_v3INS_28GridwiseGemm_xdl_cshuffle_v3INS_13tensor_layout4gemm8RowMajorENS3_11ColumnMajorES4_DF16_NS_7pk_i4_tEfDF16_DF16_NS_16tensor_operation12element_wise11PassThroughES9_S9_LNS7_6device18GemmSpecializationE0ELi256ELi1ELi128ELi128ELi128ELi64ELi8ELi16ELi16ELi16ELi8ELi2ENS_8SequenceIJLi8ELi32ELi1EEEENSC_IJLi1ELi0ELi2EEEESE_Li2ELi8ELi8ELb0ELi0ENSC_IJLi2ELi128ELi1EEEESE_SE_Li2ELi16ELi16ELb0ELi0ELi1ELi1ENSC_IJLi1ELi16ELi1ELi16EEEELi4ELNS_26BlockGemmPipelineSchedulerE0ELNS_24BlockGemmPipelineVersionE2EDF16_DF16_Lb0ELb1EEELb1ELNS_25InMemoryDataOperationEnumE0ELi2ELNS_10TailNumberE10EEEvNT_8ArgumentE.num_vgpr, 205
	.set _ZN2ck27kernel_gemm_xdl_cshuffle_v3INS_28GridwiseGemm_xdl_cshuffle_v3INS_13tensor_layout4gemm8RowMajorENS3_11ColumnMajorES4_DF16_NS_7pk_i4_tEfDF16_DF16_NS_16tensor_operation12element_wise11PassThroughES9_S9_LNS7_6device18GemmSpecializationE0ELi256ELi1ELi128ELi128ELi128ELi64ELi8ELi16ELi16ELi16ELi8ELi2ENS_8SequenceIJLi8ELi32ELi1EEEENSC_IJLi1ELi0ELi2EEEESE_Li2ELi8ELi8ELb0ELi0ENSC_IJLi2ELi128ELi1EEEESE_SE_Li2ELi16ELi16ELb0ELi0ELi1ELi1ENSC_IJLi1ELi16ELi1ELi16EEEELi4ELNS_26BlockGemmPipelineSchedulerE0ELNS_24BlockGemmPipelineVersionE2EDF16_DF16_Lb0ELb1EEELb1ELNS_25InMemoryDataOperationEnumE0ELi2ELNS_10TailNumberE10EEEvNT_8ArgumentE.num_agpr, 0
	.set _ZN2ck27kernel_gemm_xdl_cshuffle_v3INS_28GridwiseGemm_xdl_cshuffle_v3INS_13tensor_layout4gemm8RowMajorENS3_11ColumnMajorES4_DF16_NS_7pk_i4_tEfDF16_DF16_NS_16tensor_operation12element_wise11PassThroughES9_S9_LNS7_6device18GemmSpecializationE0ELi256ELi1ELi128ELi128ELi128ELi64ELi8ELi16ELi16ELi16ELi8ELi2ENS_8SequenceIJLi8ELi32ELi1EEEENSC_IJLi1ELi0ELi2EEEESE_Li2ELi8ELi8ELb0ELi0ENSC_IJLi2ELi128ELi1EEEESE_SE_Li2ELi16ELi16ELb0ELi0ELi1ELi1ENSC_IJLi1ELi16ELi1ELi16EEEELi4ELNS_26BlockGemmPipelineSchedulerE0ELNS_24BlockGemmPipelineVersionE2EDF16_DF16_Lb0ELb1EEELb1ELNS_25InMemoryDataOperationEnumE0ELi2ELNS_10TailNumberE10EEEvNT_8ArgumentE.numbered_sgpr, 36
	.set _ZN2ck27kernel_gemm_xdl_cshuffle_v3INS_28GridwiseGemm_xdl_cshuffle_v3INS_13tensor_layout4gemm8RowMajorENS3_11ColumnMajorES4_DF16_NS_7pk_i4_tEfDF16_DF16_NS_16tensor_operation12element_wise11PassThroughES9_S9_LNS7_6device18GemmSpecializationE0ELi256ELi1ELi128ELi128ELi128ELi64ELi8ELi16ELi16ELi16ELi8ELi2ENS_8SequenceIJLi8ELi32ELi1EEEENSC_IJLi1ELi0ELi2EEEESE_Li2ELi8ELi8ELb0ELi0ENSC_IJLi2ELi128ELi1EEEESE_SE_Li2ELi16ELi16ELb0ELi0ELi1ELi1ENSC_IJLi1ELi16ELi1ELi16EEEELi4ELNS_26BlockGemmPipelineSchedulerE0ELNS_24BlockGemmPipelineVersionE2EDF16_DF16_Lb0ELb1EEELb1ELNS_25InMemoryDataOperationEnumE0ELi2ELNS_10TailNumberE10EEEvNT_8ArgumentE.num_named_barrier, 0
	.set _ZN2ck27kernel_gemm_xdl_cshuffle_v3INS_28GridwiseGemm_xdl_cshuffle_v3INS_13tensor_layout4gemm8RowMajorENS3_11ColumnMajorES4_DF16_NS_7pk_i4_tEfDF16_DF16_NS_16tensor_operation12element_wise11PassThroughES9_S9_LNS7_6device18GemmSpecializationE0ELi256ELi1ELi128ELi128ELi128ELi64ELi8ELi16ELi16ELi16ELi8ELi2ENS_8SequenceIJLi8ELi32ELi1EEEENSC_IJLi1ELi0ELi2EEEESE_Li2ELi8ELi8ELb0ELi0ENSC_IJLi2ELi128ELi1EEEESE_SE_Li2ELi16ELi16ELb0ELi0ELi1ELi1ENSC_IJLi1ELi16ELi1ELi16EEEELi4ELNS_26BlockGemmPipelineSchedulerE0ELNS_24BlockGemmPipelineVersionE2EDF16_DF16_Lb0ELb1EEELb1ELNS_25InMemoryDataOperationEnumE0ELi2ELNS_10TailNumberE10EEEvNT_8ArgumentE.private_seg_size, 0
	.set _ZN2ck27kernel_gemm_xdl_cshuffle_v3INS_28GridwiseGemm_xdl_cshuffle_v3INS_13tensor_layout4gemm8RowMajorENS3_11ColumnMajorES4_DF16_NS_7pk_i4_tEfDF16_DF16_NS_16tensor_operation12element_wise11PassThroughES9_S9_LNS7_6device18GemmSpecializationE0ELi256ELi1ELi128ELi128ELi128ELi64ELi8ELi16ELi16ELi16ELi8ELi2ENS_8SequenceIJLi8ELi32ELi1EEEENSC_IJLi1ELi0ELi2EEEESE_Li2ELi8ELi8ELb0ELi0ENSC_IJLi2ELi128ELi1EEEESE_SE_Li2ELi16ELi16ELb0ELi0ELi1ELi1ENSC_IJLi1ELi16ELi1ELi16EEEELi4ELNS_26BlockGemmPipelineSchedulerE0ELNS_24BlockGemmPipelineVersionE2EDF16_DF16_Lb0ELb1EEELb1ELNS_25InMemoryDataOperationEnumE0ELi2ELNS_10TailNumberE10EEEvNT_8ArgumentE.uses_vcc, 1
	.set _ZN2ck27kernel_gemm_xdl_cshuffle_v3INS_28GridwiseGemm_xdl_cshuffle_v3INS_13tensor_layout4gemm8RowMajorENS3_11ColumnMajorES4_DF16_NS_7pk_i4_tEfDF16_DF16_NS_16tensor_operation12element_wise11PassThroughES9_S9_LNS7_6device18GemmSpecializationE0ELi256ELi1ELi128ELi128ELi128ELi64ELi8ELi16ELi16ELi16ELi8ELi2ENS_8SequenceIJLi8ELi32ELi1EEEENSC_IJLi1ELi0ELi2EEEESE_Li2ELi8ELi8ELb0ELi0ENSC_IJLi2ELi128ELi1EEEESE_SE_Li2ELi16ELi16ELb0ELi0ELi1ELi1ENSC_IJLi1ELi16ELi1ELi16EEEELi4ELNS_26BlockGemmPipelineSchedulerE0ELNS_24BlockGemmPipelineVersionE2EDF16_DF16_Lb0ELb1EEELb1ELNS_25InMemoryDataOperationEnumE0ELi2ELNS_10TailNumberE10EEEvNT_8ArgumentE.uses_flat_scratch, 0
	.set _ZN2ck27kernel_gemm_xdl_cshuffle_v3INS_28GridwiseGemm_xdl_cshuffle_v3INS_13tensor_layout4gemm8RowMajorENS3_11ColumnMajorES4_DF16_NS_7pk_i4_tEfDF16_DF16_NS_16tensor_operation12element_wise11PassThroughES9_S9_LNS7_6device18GemmSpecializationE0ELi256ELi1ELi128ELi128ELi128ELi64ELi8ELi16ELi16ELi16ELi8ELi2ENS_8SequenceIJLi8ELi32ELi1EEEENSC_IJLi1ELi0ELi2EEEESE_Li2ELi8ELi8ELb0ELi0ENSC_IJLi2ELi128ELi1EEEESE_SE_Li2ELi16ELi16ELb0ELi0ELi1ELi1ENSC_IJLi1ELi16ELi1ELi16EEEELi4ELNS_26BlockGemmPipelineSchedulerE0ELNS_24BlockGemmPipelineVersionE2EDF16_DF16_Lb0ELb1EEELb1ELNS_25InMemoryDataOperationEnumE0ELi2ELNS_10TailNumberE10EEEvNT_8ArgumentE.has_dyn_sized_stack, 0
	.set _ZN2ck27kernel_gemm_xdl_cshuffle_v3INS_28GridwiseGemm_xdl_cshuffle_v3INS_13tensor_layout4gemm8RowMajorENS3_11ColumnMajorES4_DF16_NS_7pk_i4_tEfDF16_DF16_NS_16tensor_operation12element_wise11PassThroughES9_S9_LNS7_6device18GemmSpecializationE0ELi256ELi1ELi128ELi128ELi128ELi64ELi8ELi16ELi16ELi16ELi8ELi2ENS_8SequenceIJLi8ELi32ELi1EEEENSC_IJLi1ELi0ELi2EEEESE_Li2ELi8ELi8ELb0ELi0ENSC_IJLi2ELi128ELi1EEEESE_SE_Li2ELi16ELi16ELb0ELi0ELi1ELi1ENSC_IJLi1ELi16ELi1ELi16EEEELi4ELNS_26BlockGemmPipelineSchedulerE0ELNS_24BlockGemmPipelineVersionE2EDF16_DF16_Lb0ELb1EEELb1ELNS_25InMemoryDataOperationEnumE0ELi2ELNS_10TailNumberE10EEEvNT_8ArgumentE.has_recursion, 0
	.set _ZN2ck27kernel_gemm_xdl_cshuffle_v3INS_28GridwiseGemm_xdl_cshuffle_v3INS_13tensor_layout4gemm8RowMajorENS3_11ColumnMajorES4_DF16_NS_7pk_i4_tEfDF16_DF16_NS_16tensor_operation12element_wise11PassThroughES9_S9_LNS7_6device18GemmSpecializationE0ELi256ELi1ELi128ELi128ELi128ELi64ELi8ELi16ELi16ELi16ELi8ELi2ENS_8SequenceIJLi8ELi32ELi1EEEENSC_IJLi1ELi0ELi2EEEESE_Li2ELi8ELi8ELb0ELi0ENSC_IJLi2ELi128ELi1EEEESE_SE_Li2ELi16ELi16ELb0ELi0ELi1ELi1ENSC_IJLi1ELi16ELi1ELi16EEEELi4ELNS_26BlockGemmPipelineSchedulerE0ELNS_24BlockGemmPipelineVersionE2EDF16_DF16_Lb0ELb1EEELb1ELNS_25InMemoryDataOperationEnumE0ELi2ELNS_10TailNumberE10EEEvNT_8ArgumentE.has_indirect_call, 0
	.section	.AMDGPU.csdata,"",@progbits
; Kernel info:
; codeLenInByte = 6256
; TotalNumSgprs: 42
; NumVgprs: 205
; NumAgprs: 0
; TotalNumVgprs: 205
; ScratchSize: 0
; MemoryBound: 0
; FloatMode: 240
; IeeeMode: 1
; LDSByteSize: 20480 bytes/workgroup (compile time only)
; SGPRBlocks: 5
; VGPRBlocks: 25
; NumSGPRsForWavesPerEU: 42
; NumVGPRsForWavesPerEU: 205
; AccumOffset: 208
; Occupancy: 2
; WaveLimiterHint : 0
; COMPUTE_PGM_RSRC2:SCRATCH_EN: 0
; COMPUTE_PGM_RSRC2:USER_SGPR: 2
; COMPUTE_PGM_RSRC2:TRAP_HANDLER: 0
; COMPUTE_PGM_RSRC2:TGID_X_EN: 1
; COMPUTE_PGM_RSRC2:TGID_Y_EN: 0
; COMPUTE_PGM_RSRC2:TGID_Z_EN: 1
; COMPUTE_PGM_RSRC2:TIDIG_COMP_CNT: 0
; COMPUTE_PGM_RSRC3_GFX90A:ACCUM_OFFSET: 51
; COMPUTE_PGM_RSRC3_GFX90A:TG_SPLIT: 0
	.section	.text._ZN2ck27kernel_gemm_xdl_cshuffle_v3INS_28GridwiseGemm_xdl_cshuffle_v3INS_13tensor_layout4gemm8RowMajorENS3_11ColumnMajorES4_DF16_NS_7pk_i4_tEfDF16_DF16_NS_16tensor_operation12element_wise11PassThroughES9_S9_LNS7_6device18GemmSpecializationE0ELi256ELi1ELi128ELi128ELi128ELi64ELi8ELi16ELi16ELi16ELi8ELi1ENS_8SequenceIJLi8ELi32ELi1EEEENSC_IJLi1ELi0ELi2EEEESE_Li2ELi8ELi8ELb0ELi0ENSC_IJLi2ELi128ELi1EEEESE_SE_Li2ELi16ELi16ELb0ELi0ELi1ELi1ENSC_IJLi1ELi16ELi1ELi16EEEELi4ELNS_26BlockGemmPipelineSchedulerE0ELNS_24BlockGemmPipelineVersionE2EDF16_DF16_Lb0ELb1EEELb1ELNS_25InMemoryDataOperationEnumE1ELi2ELNS_10TailNumberE10EEEvNT_8ArgumentE,"axG",@progbits,_ZN2ck27kernel_gemm_xdl_cshuffle_v3INS_28GridwiseGemm_xdl_cshuffle_v3INS_13tensor_layout4gemm8RowMajorENS3_11ColumnMajorES4_DF16_NS_7pk_i4_tEfDF16_DF16_NS_16tensor_operation12element_wise11PassThroughES9_S9_LNS7_6device18GemmSpecializationE0ELi256ELi1ELi128ELi128ELi128ELi64ELi8ELi16ELi16ELi16ELi8ELi1ENS_8SequenceIJLi8ELi32ELi1EEEENSC_IJLi1ELi0ELi2EEEESE_Li2ELi8ELi8ELb0ELi0ENSC_IJLi2ELi128ELi1EEEESE_SE_Li2ELi16ELi16ELb0ELi0ELi1ELi1ENSC_IJLi1ELi16ELi1ELi16EEEELi4ELNS_26BlockGemmPipelineSchedulerE0ELNS_24BlockGemmPipelineVersionE2EDF16_DF16_Lb0ELb1EEELb1ELNS_25InMemoryDataOperationEnumE1ELi2ELNS_10TailNumberE10EEEvNT_8ArgumentE,comdat
	.protected	_ZN2ck27kernel_gemm_xdl_cshuffle_v3INS_28GridwiseGemm_xdl_cshuffle_v3INS_13tensor_layout4gemm8RowMajorENS3_11ColumnMajorES4_DF16_NS_7pk_i4_tEfDF16_DF16_NS_16tensor_operation12element_wise11PassThroughES9_S9_LNS7_6device18GemmSpecializationE0ELi256ELi1ELi128ELi128ELi128ELi64ELi8ELi16ELi16ELi16ELi8ELi1ENS_8SequenceIJLi8ELi32ELi1EEEENSC_IJLi1ELi0ELi2EEEESE_Li2ELi8ELi8ELb0ELi0ENSC_IJLi2ELi128ELi1EEEESE_SE_Li2ELi16ELi16ELb0ELi0ELi1ELi1ENSC_IJLi1ELi16ELi1ELi16EEEELi4ELNS_26BlockGemmPipelineSchedulerE0ELNS_24BlockGemmPipelineVersionE2EDF16_DF16_Lb0ELb1EEELb1ELNS_25InMemoryDataOperationEnumE1ELi2ELNS_10TailNumberE10EEEvNT_8ArgumentE ; -- Begin function _ZN2ck27kernel_gemm_xdl_cshuffle_v3INS_28GridwiseGemm_xdl_cshuffle_v3INS_13tensor_layout4gemm8RowMajorENS3_11ColumnMajorES4_DF16_NS_7pk_i4_tEfDF16_DF16_NS_16tensor_operation12element_wise11PassThroughES9_S9_LNS7_6device18GemmSpecializationE0ELi256ELi1ELi128ELi128ELi128ELi64ELi8ELi16ELi16ELi16ELi8ELi1ENS_8SequenceIJLi8ELi32ELi1EEEENSC_IJLi1ELi0ELi2EEEESE_Li2ELi8ELi8ELb0ELi0ENSC_IJLi2ELi128ELi1EEEESE_SE_Li2ELi16ELi16ELb0ELi0ELi1ELi1ENSC_IJLi1ELi16ELi1ELi16EEEELi4ELNS_26BlockGemmPipelineSchedulerE0ELNS_24BlockGemmPipelineVersionE2EDF16_DF16_Lb0ELb1EEELb1ELNS_25InMemoryDataOperationEnumE1ELi2ELNS_10TailNumberE10EEEvNT_8ArgumentE
	.globl	_ZN2ck27kernel_gemm_xdl_cshuffle_v3INS_28GridwiseGemm_xdl_cshuffle_v3INS_13tensor_layout4gemm8RowMajorENS3_11ColumnMajorES4_DF16_NS_7pk_i4_tEfDF16_DF16_NS_16tensor_operation12element_wise11PassThroughES9_S9_LNS7_6device18GemmSpecializationE0ELi256ELi1ELi128ELi128ELi128ELi64ELi8ELi16ELi16ELi16ELi8ELi1ENS_8SequenceIJLi8ELi32ELi1EEEENSC_IJLi1ELi0ELi2EEEESE_Li2ELi8ELi8ELb0ELi0ENSC_IJLi2ELi128ELi1EEEESE_SE_Li2ELi16ELi16ELb0ELi0ELi1ELi1ENSC_IJLi1ELi16ELi1ELi16EEEELi4ELNS_26BlockGemmPipelineSchedulerE0ELNS_24BlockGemmPipelineVersionE2EDF16_DF16_Lb0ELb1EEELb1ELNS_25InMemoryDataOperationEnumE1ELi2ELNS_10TailNumberE10EEEvNT_8ArgumentE
	.p2align	8
	.type	_ZN2ck27kernel_gemm_xdl_cshuffle_v3INS_28GridwiseGemm_xdl_cshuffle_v3INS_13tensor_layout4gemm8RowMajorENS3_11ColumnMajorES4_DF16_NS_7pk_i4_tEfDF16_DF16_NS_16tensor_operation12element_wise11PassThroughES9_S9_LNS7_6device18GemmSpecializationE0ELi256ELi1ELi128ELi128ELi128ELi64ELi8ELi16ELi16ELi16ELi8ELi1ENS_8SequenceIJLi8ELi32ELi1EEEENSC_IJLi1ELi0ELi2EEEESE_Li2ELi8ELi8ELb0ELi0ENSC_IJLi2ELi128ELi1EEEESE_SE_Li2ELi16ELi16ELb0ELi0ELi1ELi1ENSC_IJLi1ELi16ELi1ELi16EEEELi4ELNS_26BlockGemmPipelineSchedulerE0ELNS_24BlockGemmPipelineVersionE2EDF16_DF16_Lb0ELb1EEELb1ELNS_25InMemoryDataOperationEnumE1ELi2ELNS_10TailNumberE10EEEvNT_8ArgumentE,@function
_ZN2ck27kernel_gemm_xdl_cshuffle_v3INS_28GridwiseGemm_xdl_cshuffle_v3INS_13tensor_layout4gemm8RowMajorENS3_11ColumnMajorES4_DF16_NS_7pk_i4_tEfDF16_DF16_NS_16tensor_operation12element_wise11PassThroughES9_S9_LNS7_6device18GemmSpecializationE0ELi256ELi1ELi128ELi128ELi128ELi64ELi8ELi16ELi16ELi16ELi8ELi1ENS_8SequenceIJLi8ELi32ELi1EEEENSC_IJLi1ELi0ELi2EEEESE_Li2ELi8ELi8ELb0ELi0ENSC_IJLi2ELi128ELi1EEEESE_SE_Li2ELi16ELi16ELb0ELi0ELi1ELi1ENSC_IJLi1ELi16ELi1ELi16EEEELi4ELNS_26BlockGemmPipelineSchedulerE0ELNS_24BlockGemmPipelineVersionE2EDF16_DF16_Lb0ELb1EEELb1ELNS_25InMemoryDataOperationEnumE1ELi2ELNS_10TailNumberE10EEEvNT_8ArgumentE: ; @_ZN2ck27kernel_gemm_xdl_cshuffle_v3INS_28GridwiseGemm_xdl_cshuffle_v3INS_13tensor_layout4gemm8RowMajorENS3_11ColumnMajorES4_DF16_NS_7pk_i4_tEfDF16_DF16_NS_16tensor_operation12element_wise11PassThroughES9_S9_LNS7_6device18GemmSpecializationE0ELi256ELi1ELi128ELi128ELi128ELi64ELi8ELi16ELi16ELi16ELi8ELi1ENS_8SequenceIJLi8ELi32ELi1EEEENSC_IJLi1ELi0ELi2EEEESE_Li2ELi8ELi8ELb0ELi0ENSC_IJLi2ELi128ELi1EEEESE_SE_Li2ELi16ELi16ELb0ELi0ELi1ELi1ENSC_IJLi1ELi16ELi1ELi16EEEELi4ELNS_26BlockGemmPipelineSchedulerE0ELNS_24BlockGemmPipelineVersionE2EDF16_DF16_Lb0ELb1EEELb1ELNS_25InMemoryDataOperationEnumE1ELi2ELNS_10TailNumberE10EEEvNT_8ArgumentE
; %bb.0:
	s_endpgm
	.section	.rodata,"a",@progbits
	.p2align	6, 0x0
	.amdhsa_kernel _ZN2ck27kernel_gemm_xdl_cshuffle_v3INS_28GridwiseGemm_xdl_cshuffle_v3INS_13tensor_layout4gemm8RowMajorENS3_11ColumnMajorES4_DF16_NS_7pk_i4_tEfDF16_DF16_NS_16tensor_operation12element_wise11PassThroughES9_S9_LNS7_6device18GemmSpecializationE0ELi256ELi1ELi128ELi128ELi128ELi64ELi8ELi16ELi16ELi16ELi8ELi1ENS_8SequenceIJLi8ELi32ELi1EEEENSC_IJLi1ELi0ELi2EEEESE_Li2ELi8ELi8ELb0ELi0ENSC_IJLi2ELi128ELi1EEEESE_SE_Li2ELi16ELi16ELb0ELi0ELi1ELi1ENSC_IJLi1ELi16ELi1ELi16EEEELi4ELNS_26BlockGemmPipelineSchedulerE0ELNS_24BlockGemmPipelineVersionE2EDF16_DF16_Lb0ELb1EEELb1ELNS_25InMemoryDataOperationEnumE1ELi2ELNS_10TailNumberE10EEEvNT_8ArgumentE
		.amdhsa_group_segment_fixed_size 0
		.amdhsa_private_segment_fixed_size 0
		.amdhsa_kernarg_size 120
		.amdhsa_user_sgpr_count 2
		.amdhsa_user_sgpr_dispatch_ptr 0
		.amdhsa_user_sgpr_queue_ptr 0
		.amdhsa_user_sgpr_kernarg_segment_ptr 1
		.amdhsa_user_sgpr_dispatch_id 0
		.amdhsa_user_sgpr_kernarg_preload_length 0
		.amdhsa_user_sgpr_kernarg_preload_offset 0
		.amdhsa_user_sgpr_private_segment_size 0
		.amdhsa_uses_dynamic_stack 0
		.amdhsa_enable_private_segment 0
		.amdhsa_system_sgpr_workgroup_id_x 1
		.amdhsa_system_sgpr_workgroup_id_y 0
		.amdhsa_system_sgpr_workgroup_id_z 0
		.amdhsa_system_sgpr_workgroup_info 0
		.amdhsa_system_vgpr_workitem_id 0
		.amdhsa_next_free_vgpr 1
		.amdhsa_next_free_sgpr 0
		.amdhsa_accum_offset 4
		.amdhsa_reserve_vcc 0
		.amdhsa_float_round_mode_32 0
		.amdhsa_float_round_mode_16_64 0
		.amdhsa_float_denorm_mode_32 3
		.amdhsa_float_denorm_mode_16_64 3
		.amdhsa_dx10_clamp 1
		.amdhsa_ieee_mode 1
		.amdhsa_fp16_overflow 0
		.amdhsa_tg_split 0
		.amdhsa_exception_fp_ieee_invalid_op 0
		.amdhsa_exception_fp_denorm_src 0
		.amdhsa_exception_fp_ieee_div_zero 0
		.amdhsa_exception_fp_ieee_overflow 0
		.amdhsa_exception_fp_ieee_underflow 0
		.amdhsa_exception_fp_ieee_inexact 0
		.amdhsa_exception_int_div_zero 0
	.end_amdhsa_kernel
	.section	.text._ZN2ck27kernel_gemm_xdl_cshuffle_v3INS_28GridwiseGemm_xdl_cshuffle_v3INS_13tensor_layout4gemm8RowMajorENS3_11ColumnMajorES4_DF16_NS_7pk_i4_tEfDF16_DF16_NS_16tensor_operation12element_wise11PassThroughES9_S9_LNS7_6device18GemmSpecializationE0ELi256ELi1ELi128ELi128ELi128ELi64ELi8ELi16ELi16ELi16ELi8ELi1ENS_8SequenceIJLi8ELi32ELi1EEEENSC_IJLi1ELi0ELi2EEEESE_Li2ELi8ELi8ELb0ELi0ENSC_IJLi2ELi128ELi1EEEESE_SE_Li2ELi16ELi16ELb0ELi0ELi1ELi1ENSC_IJLi1ELi16ELi1ELi16EEEELi4ELNS_26BlockGemmPipelineSchedulerE0ELNS_24BlockGemmPipelineVersionE2EDF16_DF16_Lb0ELb1EEELb1ELNS_25InMemoryDataOperationEnumE1ELi2ELNS_10TailNumberE10EEEvNT_8ArgumentE,"axG",@progbits,_ZN2ck27kernel_gemm_xdl_cshuffle_v3INS_28GridwiseGemm_xdl_cshuffle_v3INS_13tensor_layout4gemm8RowMajorENS3_11ColumnMajorES4_DF16_NS_7pk_i4_tEfDF16_DF16_NS_16tensor_operation12element_wise11PassThroughES9_S9_LNS7_6device18GemmSpecializationE0ELi256ELi1ELi128ELi128ELi128ELi64ELi8ELi16ELi16ELi16ELi8ELi1ENS_8SequenceIJLi8ELi32ELi1EEEENSC_IJLi1ELi0ELi2EEEESE_Li2ELi8ELi8ELb0ELi0ENSC_IJLi2ELi128ELi1EEEESE_SE_Li2ELi16ELi16ELb0ELi0ELi1ELi1ENSC_IJLi1ELi16ELi1ELi16EEEELi4ELNS_26BlockGemmPipelineSchedulerE0ELNS_24BlockGemmPipelineVersionE2EDF16_DF16_Lb0ELb1EEELb1ELNS_25InMemoryDataOperationEnumE1ELi2ELNS_10TailNumberE10EEEvNT_8ArgumentE,comdat
.Lfunc_end3:
	.size	_ZN2ck27kernel_gemm_xdl_cshuffle_v3INS_28GridwiseGemm_xdl_cshuffle_v3INS_13tensor_layout4gemm8RowMajorENS3_11ColumnMajorES4_DF16_NS_7pk_i4_tEfDF16_DF16_NS_16tensor_operation12element_wise11PassThroughES9_S9_LNS7_6device18GemmSpecializationE0ELi256ELi1ELi128ELi128ELi128ELi64ELi8ELi16ELi16ELi16ELi8ELi1ENS_8SequenceIJLi8ELi32ELi1EEEENSC_IJLi1ELi0ELi2EEEESE_Li2ELi8ELi8ELb0ELi0ENSC_IJLi2ELi128ELi1EEEESE_SE_Li2ELi16ELi16ELb0ELi0ELi1ELi1ENSC_IJLi1ELi16ELi1ELi16EEEELi4ELNS_26BlockGemmPipelineSchedulerE0ELNS_24BlockGemmPipelineVersionE2EDF16_DF16_Lb0ELb1EEELb1ELNS_25InMemoryDataOperationEnumE1ELi2ELNS_10TailNumberE10EEEvNT_8ArgumentE, .Lfunc_end3-_ZN2ck27kernel_gemm_xdl_cshuffle_v3INS_28GridwiseGemm_xdl_cshuffle_v3INS_13tensor_layout4gemm8RowMajorENS3_11ColumnMajorES4_DF16_NS_7pk_i4_tEfDF16_DF16_NS_16tensor_operation12element_wise11PassThroughES9_S9_LNS7_6device18GemmSpecializationE0ELi256ELi1ELi128ELi128ELi128ELi64ELi8ELi16ELi16ELi16ELi8ELi1ENS_8SequenceIJLi8ELi32ELi1EEEENSC_IJLi1ELi0ELi2EEEESE_Li2ELi8ELi8ELb0ELi0ENSC_IJLi2ELi128ELi1EEEESE_SE_Li2ELi16ELi16ELb0ELi0ELi1ELi1ENSC_IJLi1ELi16ELi1ELi16EEEELi4ELNS_26BlockGemmPipelineSchedulerE0ELNS_24BlockGemmPipelineVersionE2EDF16_DF16_Lb0ELb1EEELb1ELNS_25InMemoryDataOperationEnumE1ELi2ELNS_10TailNumberE10EEEvNT_8ArgumentE
                                        ; -- End function
	.set _ZN2ck27kernel_gemm_xdl_cshuffle_v3INS_28GridwiseGemm_xdl_cshuffle_v3INS_13tensor_layout4gemm8RowMajorENS3_11ColumnMajorES4_DF16_NS_7pk_i4_tEfDF16_DF16_NS_16tensor_operation12element_wise11PassThroughES9_S9_LNS7_6device18GemmSpecializationE0ELi256ELi1ELi128ELi128ELi128ELi64ELi8ELi16ELi16ELi16ELi8ELi1ENS_8SequenceIJLi8ELi32ELi1EEEENSC_IJLi1ELi0ELi2EEEESE_Li2ELi8ELi8ELb0ELi0ENSC_IJLi2ELi128ELi1EEEESE_SE_Li2ELi16ELi16ELb0ELi0ELi1ELi1ENSC_IJLi1ELi16ELi1ELi16EEEELi4ELNS_26BlockGemmPipelineSchedulerE0ELNS_24BlockGemmPipelineVersionE2EDF16_DF16_Lb0ELb1EEELb1ELNS_25InMemoryDataOperationEnumE1ELi2ELNS_10TailNumberE10EEEvNT_8ArgumentE.num_vgpr, 0
	.set _ZN2ck27kernel_gemm_xdl_cshuffle_v3INS_28GridwiseGemm_xdl_cshuffle_v3INS_13tensor_layout4gemm8RowMajorENS3_11ColumnMajorES4_DF16_NS_7pk_i4_tEfDF16_DF16_NS_16tensor_operation12element_wise11PassThroughES9_S9_LNS7_6device18GemmSpecializationE0ELi256ELi1ELi128ELi128ELi128ELi64ELi8ELi16ELi16ELi16ELi8ELi1ENS_8SequenceIJLi8ELi32ELi1EEEENSC_IJLi1ELi0ELi2EEEESE_Li2ELi8ELi8ELb0ELi0ENSC_IJLi2ELi128ELi1EEEESE_SE_Li2ELi16ELi16ELb0ELi0ELi1ELi1ENSC_IJLi1ELi16ELi1ELi16EEEELi4ELNS_26BlockGemmPipelineSchedulerE0ELNS_24BlockGemmPipelineVersionE2EDF16_DF16_Lb0ELb1EEELb1ELNS_25InMemoryDataOperationEnumE1ELi2ELNS_10TailNumberE10EEEvNT_8ArgumentE.num_agpr, 0
	.set _ZN2ck27kernel_gemm_xdl_cshuffle_v3INS_28GridwiseGemm_xdl_cshuffle_v3INS_13tensor_layout4gemm8RowMajorENS3_11ColumnMajorES4_DF16_NS_7pk_i4_tEfDF16_DF16_NS_16tensor_operation12element_wise11PassThroughES9_S9_LNS7_6device18GemmSpecializationE0ELi256ELi1ELi128ELi128ELi128ELi64ELi8ELi16ELi16ELi16ELi8ELi1ENS_8SequenceIJLi8ELi32ELi1EEEENSC_IJLi1ELi0ELi2EEEESE_Li2ELi8ELi8ELb0ELi0ENSC_IJLi2ELi128ELi1EEEESE_SE_Li2ELi16ELi16ELb0ELi0ELi1ELi1ENSC_IJLi1ELi16ELi1ELi16EEEELi4ELNS_26BlockGemmPipelineSchedulerE0ELNS_24BlockGemmPipelineVersionE2EDF16_DF16_Lb0ELb1EEELb1ELNS_25InMemoryDataOperationEnumE1ELi2ELNS_10TailNumberE10EEEvNT_8ArgumentE.numbered_sgpr, 0
	.set _ZN2ck27kernel_gemm_xdl_cshuffle_v3INS_28GridwiseGemm_xdl_cshuffle_v3INS_13tensor_layout4gemm8RowMajorENS3_11ColumnMajorES4_DF16_NS_7pk_i4_tEfDF16_DF16_NS_16tensor_operation12element_wise11PassThroughES9_S9_LNS7_6device18GemmSpecializationE0ELi256ELi1ELi128ELi128ELi128ELi64ELi8ELi16ELi16ELi16ELi8ELi1ENS_8SequenceIJLi8ELi32ELi1EEEENSC_IJLi1ELi0ELi2EEEESE_Li2ELi8ELi8ELb0ELi0ENSC_IJLi2ELi128ELi1EEEESE_SE_Li2ELi16ELi16ELb0ELi0ELi1ELi1ENSC_IJLi1ELi16ELi1ELi16EEEELi4ELNS_26BlockGemmPipelineSchedulerE0ELNS_24BlockGemmPipelineVersionE2EDF16_DF16_Lb0ELb1EEELb1ELNS_25InMemoryDataOperationEnumE1ELi2ELNS_10TailNumberE10EEEvNT_8ArgumentE.num_named_barrier, 0
	.set _ZN2ck27kernel_gemm_xdl_cshuffle_v3INS_28GridwiseGemm_xdl_cshuffle_v3INS_13tensor_layout4gemm8RowMajorENS3_11ColumnMajorES4_DF16_NS_7pk_i4_tEfDF16_DF16_NS_16tensor_operation12element_wise11PassThroughES9_S9_LNS7_6device18GemmSpecializationE0ELi256ELi1ELi128ELi128ELi128ELi64ELi8ELi16ELi16ELi16ELi8ELi1ENS_8SequenceIJLi8ELi32ELi1EEEENSC_IJLi1ELi0ELi2EEEESE_Li2ELi8ELi8ELb0ELi0ENSC_IJLi2ELi128ELi1EEEESE_SE_Li2ELi16ELi16ELb0ELi0ELi1ELi1ENSC_IJLi1ELi16ELi1ELi16EEEELi4ELNS_26BlockGemmPipelineSchedulerE0ELNS_24BlockGemmPipelineVersionE2EDF16_DF16_Lb0ELb1EEELb1ELNS_25InMemoryDataOperationEnumE1ELi2ELNS_10TailNumberE10EEEvNT_8ArgumentE.private_seg_size, 0
	.set _ZN2ck27kernel_gemm_xdl_cshuffle_v3INS_28GridwiseGemm_xdl_cshuffle_v3INS_13tensor_layout4gemm8RowMajorENS3_11ColumnMajorES4_DF16_NS_7pk_i4_tEfDF16_DF16_NS_16tensor_operation12element_wise11PassThroughES9_S9_LNS7_6device18GemmSpecializationE0ELi256ELi1ELi128ELi128ELi128ELi64ELi8ELi16ELi16ELi16ELi8ELi1ENS_8SequenceIJLi8ELi32ELi1EEEENSC_IJLi1ELi0ELi2EEEESE_Li2ELi8ELi8ELb0ELi0ENSC_IJLi2ELi128ELi1EEEESE_SE_Li2ELi16ELi16ELb0ELi0ELi1ELi1ENSC_IJLi1ELi16ELi1ELi16EEEELi4ELNS_26BlockGemmPipelineSchedulerE0ELNS_24BlockGemmPipelineVersionE2EDF16_DF16_Lb0ELb1EEELb1ELNS_25InMemoryDataOperationEnumE1ELi2ELNS_10TailNumberE10EEEvNT_8ArgumentE.uses_vcc, 0
	.set _ZN2ck27kernel_gemm_xdl_cshuffle_v3INS_28GridwiseGemm_xdl_cshuffle_v3INS_13tensor_layout4gemm8RowMajorENS3_11ColumnMajorES4_DF16_NS_7pk_i4_tEfDF16_DF16_NS_16tensor_operation12element_wise11PassThroughES9_S9_LNS7_6device18GemmSpecializationE0ELi256ELi1ELi128ELi128ELi128ELi64ELi8ELi16ELi16ELi16ELi8ELi1ENS_8SequenceIJLi8ELi32ELi1EEEENSC_IJLi1ELi0ELi2EEEESE_Li2ELi8ELi8ELb0ELi0ENSC_IJLi2ELi128ELi1EEEESE_SE_Li2ELi16ELi16ELb0ELi0ELi1ELi1ENSC_IJLi1ELi16ELi1ELi16EEEELi4ELNS_26BlockGemmPipelineSchedulerE0ELNS_24BlockGemmPipelineVersionE2EDF16_DF16_Lb0ELb1EEELb1ELNS_25InMemoryDataOperationEnumE1ELi2ELNS_10TailNumberE10EEEvNT_8ArgumentE.uses_flat_scratch, 0
	.set _ZN2ck27kernel_gemm_xdl_cshuffle_v3INS_28GridwiseGemm_xdl_cshuffle_v3INS_13tensor_layout4gemm8RowMajorENS3_11ColumnMajorES4_DF16_NS_7pk_i4_tEfDF16_DF16_NS_16tensor_operation12element_wise11PassThroughES9_S9_LNS7_6device18GemmSpecializationE0ELi256ELi1ELi128ELi128ELi128ELi64ELi8ELi16ELi16ELi16ELi8ELi1ENS_8SequenceIJLi8ELi32ELi1EEEENSC_IJLi1ELi0ELi2EEEESE_Li2ELi8ELi8ELb0ELi0ENSC_IJLi2ELi128ELi1EEEESE_SE_Li2ELi16ELi16ELb0ELi0ELi1ELi1ENSC_IJLi1ELi16ELi1ELi16EEEELi4ELNS_26BlockGemmPipelineSchedulerE0ELNS_24BlockGemmPipelineVersionE2EDF16_DF16_Lb0ELb1EEELb1ELNS_25InMemoryDataOperationEnumE1ELi2ELNS_10TailNumberE10EEEvNT_8ArgumentE.has_dyn_sized_stack, 0
	.set _ZN2ck27kernel_gemm_xdl_cshuffle_v3INS_28GridwiseGemm_xdl_cshuffle_v3INS_13tensor_layout4gemm8RowMajorENS3_11ColumnMajorES4_DF16_NS_7pk_i4_tEfDF16_DF16_NS_16tensor_operation12element_wise11PassThroughES9_S9_LNS7_6device18GemmSpecializationE0ELi256ELi1ELi128ELi128ELi128ELi64ELi8ELi16ELi16ELi16ELi8ELi1ENS_8SequenceIJLi8ELi32ELi1EEEENSC_IJLi1ELi0ELi2EEEESE_Li2ELi8ELi8ELb0ELi0ENSC_IJLi2ELi128ELi1EEEESE_SE_Li2ELi16ELi16ELb0ELi0ELi1ELi1ENSC_IJLi1ELi16ELi1ELi16EEEELi4ELNS_26BlockGemmPipelineSchedulerE0ELNS_24BlockGemmPipelineVersionE2EDF16_DF16_Lb0ELb1EEELb1ELNS_25InMemoryDataOperationEnumE1ELi2ELNS_10TailNumberE10EEEvNT_8ArgumentE.has_recursion, 0
	.set _ZN2ck27kernel_gemm_xdl_cshuffle_v3INS_28GridwiseGemm_xdl_cshuffle_v3INS_13tensor_layout4gemm8RowMajorENS3_11ColumnMajorES4_DF16_NS_7pk_i4_tEfDF16_DF16_NS_16tensor_operation12element_wise11PassThroughES9_S9_LNS7_6device18GemmSpecializationE0ELi256ELi1ELi128ELi128ELi128ELi64ELi8ELi16ELi16ELi16ELi8ELi1ENS_8SequenceIJLi8ELi32ELi1EEEENSC_IJLi1ELi0ELi2EEEESE_Li2ELi8ELi8ELb0ELi0ENSC_IJLi2ELi128ELi1EEEESE_SE_Li2ELi16ELi16ELb0ELi0ELi1ELi1ENSC_IJLi1ELi16ELi1ELi16EEEELi4ELNS_26BlockGemmPipelineSchedulerE0ELNS_24BlockGemmPipelineVersionE2EDF16_DF16_Lb0ELb1EEELb1ELNS_25InMemoryDataOperationEnumE1ELi2ELNS_10TailNumberE10EEEvNT_8ArgumentE.has_indirect_call, 0
	.section	.AMDGPU.csdata,"",@progbits
; Kernel info:
; codeLenInByte = 4
; TotalNumSgprs: 6
; NumVgprs: 0
; NumAgprs: 0
; TotalNumVgprs: 0
; ScratchSize: 0
; MemoryBound: 0
; FloatMode: 240
; IeeeMode: 1
; LDSByteSize: 0 bytes/workgroup (compile time only)
; SGPRBlocks: 0
; VGPRBlocks: 0
; NumSGPRsForWavesPerEU: 6
; NumVGPRsForWavesPerEU: 1
; AccumOffset: 4
; Occupancy: 8
; WaveLimiterHint : 0
; COMPUTE_PGM_RSRC2:SCRATCH_EN: 0
; COMPUTE_PGM_RSRC2:USER_SGPR: 2
; COMPUTE_PGM_RSRC2:TRAP_HANDLER: 0
; COMPUTE_PGM_RSRC2:TGID_X_EN: 1
; COMPUTE_PGM_RSRC2:TGID_Y_EN: 0
; COMPUTE_PGM_RSRC2:TGID_Z_EN: 0
; COMPUTE_PGM_RSRC2:TIDIG_COMP_CNT: 0
; COMPUTE_PGM_RSRC3_GFX90A:ACCUM_OFFSET: 0
; COMPUTE_PGM_RSRC3_GFX90A:TG_SPLIT: 0
	.section	.text._ZN2ck27kernel_gemm_xdl_cshuffle_v3INS_28GridwiseGemm_xdl_cshuffle_v3INS_13tensor_layout4gemm8RowMajorENS3_11ColumnMajorES4_DF16_NS_7pk_i4_tEfDF16_DF16_NS_16tensor_operation12element_wise11PassThroughES9_S9_LNS7_6device18GemmSpecializationE0ELi256ELi1ELi128ELi128ELi128ELi64ELi8ELi16ELi16ELi16ELi8ELi1ENS_8SequenceIJLi8ELi32ELi1EEEENSC_IJLi1ELi0ELi2EEEESE_Li2ELi8ELi8ELb0ELi0ENSC_IJLi2ELi128ELi1EEEESE_SE_Li2ELi16ELi16ELb0ELi0ELi1ELi1ENSC_IJLi1ELi16ELi1ELi16EEEELi4ELNS_26BlockGemmPipelineSchedulerE0ELNS_24BlockGemmPipelineVersionE2EDF16_DF16_Lb0ELb1EEELb1ELNS_25InMemoryDataOperationEnumE0ELi2ELNS_10TailNumberE10EEEvNT_8ArgumentE,"axG",@progbits,_ZN2ck27kernel_gemm_xdl_cshuffle_v3INS_28GridwiseGemm_xdl_cshuffle_v3INS_13tensor_layout4gemm8RowMajorENS3_11ColumnMajorES4_DF16_NS_7pk_i4_tEfDF16_DF16_NS_16tensor_operation12element_wise11PassThroughES9_S9_LNS7_6device18GemmSpecializationE0ELi256ELi1ELi128ELi128ELi128ELi64ELi8ELi16ELi16ELi16ELi8ELi1ENS_8SequenceIJLi8ELi32ELi1EEEENSC_IJLi1ELi0ELi2EEEESE_Li2ELi8ELi8ELb0ELi0ENSC_IJLi2ELi128ELi1EEEESE_SE_Li2ELi16ELi16ELb0ELi0ELi1ELi1ENSC_IJLi1ELi16ELi1ELi16EEEELi4ELNS_26BlockGemmPipelineSchedulerE0ELNS_24BlockGemmPipelineVersionE2EDF16_DF16_Lb0ELb1EEELb1ELNS_25InMemoryDataOperationEnumE0ELi2ELNS_10TailNumberE10EEEvNT_8ArgumentE,comdat
	.protected	_ZN2ck27kernel_gemm_xdl_cshuffle_v3INS_28GridwiseGemm_xdl_cshuffle_v3INS_13tensor_layout4gemm8RowMajorENS3_11ColumnMajorES4_DF16_NS_7pk_i4_tEfDF16_DF16_NS_16tensor_operation12element_wise11PassThroughES9_S9_LNS7_6device18GemmSpecializationE0ELi256ELi1ELi128ELi128ELi128ELi64ELi8ELi16ELi16ELi16ELi8ELi1ENS_8SequenceIJLi8ELi32ELi1EEEENSC_IJLi1ELi0ELi2EEEESE_Li2ELi8ELi8ELb0ELi0ENSC_IJLi2ELi128ELi1EEEESE_SE_Li2ELi16ELi16ELb0ELi0ELi1ELi1ENSC_IJLi1ELi16ELi1ELi16EEEELi4ELNS_26BlockGemmPipelineSchedulerE0ELNS_24BlockGemmPipelineVersionE2EDF16_DF16_Lb0ELb1EEELb1ELNS_25InMemoryDataOperationEnumE0ELi2ELNS_10TailNumberE10EEEvNT_8ArgumentE ; -- Begin function _ZN2ck27kernel_gemm_xdl_cshuffle_v3INS_28GridwiseGemm_xdl_cshuffle_v3INS_13tensor_layout4gemm8RowMajorENS3_11ColumnMajorES4_DF16_NS_7pk_i4_tEfDF16_DF16_NS_16tensor_operation12element_wise11PassThroughES9_S9_LNS7_6device18GemmSpecializationE0ELi256ELi1ELi128ELi128ELi128ELi64ELi8ELi16ELi16ELi16ELi8ELi1ENS_8SequenceIJLi8ELi32ELi1EEEENSC_IJLi1ELi0ELi2EEEESE_Li2ELi8ELi8ELb0ELi0ENSC_IJLi2ELi128ELi1EEEESE_SE_Li2ELi16ELi16ELb0ELi0ELi1ELi1ENSC_IJLi1ELi16ELi1ELi16EEEELi4ELNS_26BlockGemmPipelineSchedulerE0ELNS_24BlockGemmPipelineVersionE2EDF16_DF16_Lb0ELb1EEELb1ELNS_25InMemoryDataOperationEnumE0ELi2ELNS_10TailNumberE10EEEvNT_8ArgumentE
	.globl	_ZN2ck27kernel_gemm_xdl_cshuffle_v3INS_28GridwiseGemm_xdl_cshuffle_v3INS_13tensor_layout4gemm8RowMajorENS3_11ColumnMajorES4_DF16_NS_7pk_i4_tEfDF16_DF16_NS_16tensor_operation12element_wise11PassThroughES9_S9_LNS7_6device18GemmSpecializationE0ELi256ELi1ELi128ELi128ELi128ELi64ELi8ELi16ELi16ELi16ELi8ELi1ENS_8SequenceIJLi8ELi32ELi1EEEENSC_IJLi1ELi0ELi2EEEESE_Li2ELi8ELi8ELb0ELi0ENSC_IJLi2ELi128ELi1EEEESE_SE_Li2ELi16ELi16ELb0ELi0ELi1ELi1ENSC_IJLi1ELi16ELi1ELi16EEEELi4ELNS_26BlockGemmPipelineSchedulerE0ELNS_24BlockGemmPipelineVersionE2EDF16_DF16_Lb0ELb1EEELb1ELNS_25InMemoryDataOperationEnumE0ELi2ELNS_10TailNumberE10EEEvNT_8ArgumentE
	.p2align	8
	.type	_ZN2ck27kernel_gemm_xdl_cshuffle_v3INS_28GridwiseGemm_xdl_cshuffle_v3INS_13tensor_layout4gemm8RowMajorENS3_11ColumnMajorES4_DF16_NS_7pk_i4_tEfDF16_DF16_NS_16tensor_operation12element_wise11PassThroughES9_S9_LNS7_6device18GemmSpecializationE0ELi256ELi1ELi128ELi128ELi128ELi64ELi8ELi16ELi16ELi16ELi8ELi1ENS_8SequenceIJLi8ELi32ELi1EEEENSC_IJLi1ELi0ELi2EEEESE_Li2ELi8ELi8ELb0ELi0ENSC_IJLi2ELi128ELi1EEEESE_SE_Li2ELi16ELi16ELb0ELi0ELi1ELi1ENSC_IJLi1ELi16ELi1ELi16EEEELi4ELNS_26BlockGemmPipelineSchedulerE0ELNS_24BlockGemmPipelineVersionE2EDF16_DF16_Lb0ELb1EEELb1ELNS_25InMemoryDataOperationEnumE0ELi2ELNS_10TailNumberE10EEEvNT_8ArgumentE,@function
_ZN2ck27kernel_gemm_xdl_cshuffle_v3INS_28GridwiseGemm_xdl_cshuffle_v3INS_13tensor_layout4gemm8RowMajorENS3_11ColumnMajorES4_DF16_NS_7pk_i4_tEfDF16_DF16_NS_16tensor_operation12element_wise11PassThroughES9_S9_LNS7_6device18GemmSpecializationE0ELi256ELi1ELi128ELi128ELi128ELi64ELi8ELi16ELi16ELi16ELi8ELi1ENS_8SequenceIJLi8ELi32ELi1EEEENSC_IJLi1ELi0ELi2EEEESE_Li2ELi8ELi8ELb0ELi0ENSC_IJLi2ELi128ELi1EEEESE_SE_Li2ELi16ELi16ELb0ELi0ELi1ELi1ENSC_IJLi1ELi16ELi1ELi16EEEELi4ELNS_26BlockGemmPipelineSchedulerE0ELNS_24BlockGemmPipelineVersionE2EDF16_DF16_Lb0ELb1EEELb1ELNS_25InMemoryDataOperationEnumE0ELi2ELNS_10TailNumberE10EEEvNT_8ArgumentE: ; @_ZN2ck27kernel_gemm_xdl_cshuffle_v3INS_28GridwiseGemm_xdl_cshuffle_v3INS_13tensor_layout4gemm8RowMajorENS3_11ColumnMajorES4_DF16_NS_7pk_i4_tEfDF16_DF16_NS_16tensor_operation12element_wise11PassThroughES9_S9_LNS7_6device18GemmSpecializationE0ELi256ELi1ELi128ELi128ELi128ELi64ELi8ELi16ELi16ELi16ELi8ELi1ENS_8SequenceIJLi8ELi32ELi1EEEENSC_IJLi1ELi0ELi2EEEESE_Li2ELi8ELi8ELb0ELi0ENSC_IJLi2ELi128ELi1EEEESE_SE_Li2ELi16ELi16ELb0ELi0ELi1ELi1ENSC_IJLi1ELi16ELi1ELi16EEEELi4ELNS_26BlockGemmPipelineSchedulerE0ELNS_24BlockGemmPipelineVersionE2EDF16_DF16_Lb0ELb1EEELb1ELNS_25InMemoryDataOperationEnumE0ELi2ELNS_10TailNumberE10EEEvNT_8ArgumentE
; %bb.0:
	s_endpgm
	.section	.rodata,"a",@progbits
	.p2align	6, 0x0
	.amdhsa_kernel _ZN2ck27kernel_gemm_xdl_cshuffle_v3INS_28GridwiseGemm_xdl_cshuffle_v3INS_13tensor_layout4gemm8RowMajorENS3_11ColumnMajorES4_DF16_NS_7pk_i4_tEfDF16_DF16_NS_16tensor_operation12element_wise11PassThroughES9_S9_LNS7_6device18GemmSpecializationE0ELi256ELi1ELi128ELi128ELi128ELi64ELi8ELi16ELi16ELi16ELi8ELi1ENS_8SequenceIJLi8ELi32ELi1EEEENSC_IJLi1ELi0ELi2EEEESE_Li2ELi8ELi8ELb0ELi0ENSC_IJLi2ELi128ELi1EEEESE_SE_Li2ELi16ELi16ELb0ELi0ELi1ELi1ENSC_IJLi1ELi16ELi1ELi16EEEELi4ELNS_26BlockGemmPipelineSchedulerE0ELNS_24BlockGemmPipelineVersionE2EDF16_DF16_Lb0ELb1EEELb1ELNS_25InMemoryDataOperationEnumE0ELi2ELNS_10TailNumberE10EEEvNT_8ArgumentE
		.amdhsa_group_segment_fixed_size 0
		.amdhsa_private_segment_fixed_size 0
		.amdhsa_kernarg_size 120
		.amdhsa_user_sgpr_count 2
		.amdhsa_user_sgpr_dispatch_ptr 0
		.amdhsa_user_sgpr_queue_ptr 0
		.amdhsa_user_sgpr_kernarg_segment_ptr 1
		.amdhsa_user_sgpr_dispatch_id 0
		.amdhsa_user_sgpr_kernarg_preload_length 0
		.amdhsa_user_sgpr_kernarg_preload_offset 0
		.amdhsa_user_sgpr_private_segment_size 0
		.amdhsa_uses_dynamic_stack 0
		.amdhsa_enable_private_segment 0
		.amdhsa_system_sgpr_workgroup_id_x 1
		.amdhsa_system_sgpr_workgroup_id_y 0
		.amdhsa_system_sgpr_workgroup_id_z 0
		.amdhsa_system_sgpr_workgroup_info 0
		.amdhsa_system_vgpr_workitem_id 0
		.amdhsa_next_free_vgpr 1
		.amdhsa_next_free_sgpr 0
		.amdhsa_accum_offset 4
		.amdhsa_reserve_vcc 0
		.amdhsa_float_round_mode_32 0
		.amdhsa_float_round_mode_16_64 0
		.amdhsa_float_denorm_mode_32 3
		.amdhsa_float_denorm_mode_16_64 3
		.amdhsa_dx10_clamp 1
		.amdhsa_ieee_mode 1
		.amdhsa_fp16_overflow 0
		.amdhsa_tg_split 0
		.amdhsa_exception_fp_ieee_invalid_op 0
		.amdhsa_exception_fp_denorm_src 0
		.amdhsa_exception_fp_ieee_div_zero 0
		.amdhsa_exception_fp_ieee_overflow 0
		.amdhsa_exception_fp_ieee_underflow 0
		.amdhsa_exception_fp_ieee_inexact 0
		.amdhsa_exception_int_div_zero 0
	.end_amdhsa_kernel
	.section	.text._ZN2ck27kernel_gemm_xdl_cshuffle_v3INS_28GridwiseGemm_xdl_cshuffle_v3INS_13tensor_layout4gemm8RowMajorENS3_11ColumnMajorES4_DF16_NS_7pk_i4_tEfDF16_DF16_NS_16tensor_operation12element_wise11PassThroughES9_S9_LNS7_6device18GemmSpecializationE0ELi256ELi1ELi128ELi128ELi128ELi64ELi8ELi16ELi16ELi16ELi8ELi1ENS_8SequenceIJLi8ELi32ELi1EEEENSC_IJLi1ELi0ELi2EEEESE_Li2ELi8ELi8ELb0ELi0ENSC_IJLi2ELi128ELi1EEEESE_SE_Li2ELi16ELi16ELb0ELi0ELi1ELi1ENSC_IJLi1ELi16ELi1ELi16EEEELi4ELNS_26BlockGemmPipelineSchedulerE0ELNS_24BlockGemmPipelineVersionE2EDF16_DF16_Lb0ELb1EEELb1ELNS_25InMemoryDataOperationEnumE0ELi2ELNS_10TailNumberE10EEEvNT_8ArgumentE,"axG",@progbits,_ZN2ck27kernel_gemm_xdl_cshuffle_v3INS_28GridwiseGemm_xdl_cshuffle_v3INS_13tensor_layout4gemm8RowMajorENS3_11ColumnMajorES4_DF16_NS_7pk_i4_tEfDF16_DF16_NS_16tensor_operation12element_wise11PassThroughES9_S9_LNS7_6device18GemmSpecializationE0ELi256ELi1ELi128ELi128ELi128ELi64ELi8ELi16ELi16ELi16ELi8ELi1ENS_8SequenceIJLi8ELi32ELi1EEEENSC_IJLi1ELi0ELi2EEEESE_Li2ELi8ELi8ELb0ELi0ENSC_IJLi2ELi128ELi1EEEESE_SE_Li2ELi16ELi16ELb0ELi0ELi1ELi1ENSC_IJLi1ELi16ELi1ELi16EEEELi4ELNS_26BlockGemmPipelineSchedulerE0ELNS_24BlockGemmPipelineVersionE2EDF16_DF16_Lb0ELb1EEELb1ELNS_25InMemoryDataOperationEnumE0ELi2ELNS_10TailNumberE10EEEvNT_8ArgumentE,comdat
.Lfunc_end4:
	.size	_ZN2ck27kernel_gemm_xdl_cshuffle_v3INS_28GridwiseGemm_xdl_cshuffle_v3INS_13tensor_layout4gemm8RowMajorENS3_11ColumnMajorES4_DF16_NS_7pk_i4_tEfDF16_DF16_NS_16tensor_operation12element_wise11PassThroughES9_S9_LNS7_6device18GemmSpecializationE0ELi256ELi1ELi128ELi128ELi128ELi64ELi8ELi16ELi16ELi16ELi8ELi1ENS_8SequenceIJLi8ELi32ELi1EEEENSC_IJLi1ELi0ELi2EEEESE_Li2ELi8ELi8ELb0ELi0ENSC_IJLi2ELi128ELi1EEEESE_SE_Li2ELi16ELi16ELb0ELi0ELi1ELi1ENSC_IJLi1ELi16ELi1ELi16EEEELi4ELNS_26BlockGemmPipelineSchedulerE0ELNS_24BlockGemmPipelineVersionE2EDF16_DF16_Lb0ELb1EEELb1ELNS_25InMemoryDataOperationEnumE0ELi2ELNS_10TailNumberE10EEEvNT_8ArgumentE, .Lfunc_end4-_ZN2ck27kernel_gemm_xdl_cshuffle_v3INS_28GridwiseGemm_xdl_cshuffle_v3INS_13tensor_layout4gemm8RowMajorENS3_11ColumnMajorES4_DF16_NS_7pk_i4_tEfDF16_DF16_NS_16tensor_operation12element_wise11PassThroughES9_S9_LNS7_6device18GemmSpecializationE0ELi256ELi1ELi128ELi128ELi128ELi64ELi8ELi16ELi16ELi16ELi8ELi1ENS_8SequenceIJLi8ELi32ELi1EEEENSC_IJLi1ELi0ELi2EEEESE_Li2ELi8ELi8ELb0ELi0ENSC_IJLi2ELi128ELi1EEEESE_SE_Li2ELi16ELi16ELb0ELi0ELi1ELi1ENSC_IJLi1ELi16ELi1ELi16EEEELi4ELNS_26BlockGemmPipelineSchedulerE0ELNS_24BlockGemmPipelineVersionE2EDF16_DF16_Lb0ELb1EEELb1ELNS_25InMemoryDataOperationEnumE0ELi2ELNS_10TailNumberE10EEEvNT_8ArgumentE
                                        ; -- End function
	.set _ZN2ck27kernel_gemm_xdl_cshuffle_v3INS_28GridwiseGemm_xdl_cshuffle_v3INS_13tensor_layout4gemm8RowMajorENS3_11ColumnMajorES4_DF16_NS_7pk_i4_tEfDF16_DF16_NS_16tensor_operation12element_wise11PassThroughES9_S9_LNS7_6device18GemmSpecializationE0ELi256ELi1ELi128ELi128ELi128ELi64ELi8ELi16ELi16ELi16ELi8ELi1ENS_8SequenceIJLi8ELi32ELi1EEEENSC_IJLi1ELi0ELi2EEEESE_Li2ELi8ELi8ELb0ELi0ENSC_IJLi2ELi128ELi1EEEESE_SE_Li2ELi16ELi16ELb0ELi0ELi1ELi1ENSC_IJLi1ELi16ELi1ELi16EEEELi4ELNS_26BlockGemmPipelineSchedulerE0ELNS_24BlockGemmPipelineVersionE2EDF16_DF16_Lb0ELb1EEELb1ELNS_25InMemoryDataOperationEnumE0ELi2ELNS_10TailNumberE10EEEvNT_8ArgumentE.num_vgpr, 0
	.set _ZN2ck27kernel_gemm_xdl_cshuffle_v3INS_28GridwiseGemm_xdl_cshuffle_v3INS_13tensor_layout4gemm8RowMajorENS3_11ColumnMajorES4_DF16_NS_7pk_i4_tEfDF16_DF16_NS_16tensor_operation12element_wise11PassThroughES9_S9_LNS7_6device18GemmSpecializationE0ELi256ELi1ELi128ELi128ELi128ELi64ELi8ELi16ELi16ELi16ELi8ELi1ENS_8SequenceIJLi8ELi32ELi1EEEENSC_IJLi1ELi0ELi2EEEESE_Li2ELi8ELi8ELb0ELi0ENSC_IJLi2ELi128ELi1EEEESE_SE_Li2ELi16ELi16ELb0ELi0ELi1ELi1ENSC_IJLi1ELi16ELi1ELi16EEEELi4ELNS_26BlockGemmPipelineSchedulerE0ELNS_24BlockGemmPipelineVersionE2EDF16_DF16_Lb0ELb1EEELb1ELNS_25InMemoryDataOperationEnumE0ELi2ELNS_10TailNumberE10EEEvNT_8ArgumentE.num_agpr, 0
	.set _ZN2ck27kernel_gemm_xdl_cshuffle_v3INS_28GridwiseGemm_xdl_cshuffle_v3INS_13tensor_layout4gemm8RowMajorENS3_11ColumnMajorES4_DF16_NS_7pk_i4_tEfDF16_DF16_NS_16tensor_operation12element_wise11PassThroughES9_S9_LNS7_6device18GemmSpecializationE0ELi256ELi1ELi128ELi128ELi128ELi64ELi8ELi16ELi16ELi16ELi8ELi1ENS_8SequenceIJLi8ELi32ELi1EEEENSC_IJLi1ELi0ELi2EEEESE_Li2ELi8ELi8ELb0ELi0ENSC_IJLi2ELi128ELi1EEEESE_SE_Li2ELi16ELi16ELb0ELi0ELi1ELi1ENSC_IJLi1ELi16ELi1ELi16EEEELi4ELNS_26BlockGemmPipelineSchedulerE0ELNS_24BlockGemmPipelineVersionE2EDF16_DF16_Lb0ELb1EEELb1ELNS_25InMemoryDataOperationEnumE0ELi2ELNS_10TailNumberE10EEEvNT_8ArgumentE.numbered_sgpr, 0
	.set _ZN2ck27kernel_gemm_xdl_cshuffle_v3INS_28GridwiseGemm_xdl_cshuffle_v3INS_13tensor_layout4gemm8RowMajorENS3_11ColumnMajorES4_DF16_NS_7pk_i4_tEfDF16_DF16_NS_16tensor_operation12element_wise11PassThroughES9_S9_LNS7_6device18GemmSpecializationE0ELi256ELi1ELi128ELi128ELi128ELi64ELi8ELi16ELi16ELi16ELi8ELi1ENS_8SequenceIJLi8ELi32ELi1EEEENSC_IJLi1ELi0ELi2EEEESE_Li2ELi8ELi8ELb0ELi0ENSC_IJLi2ELi128ELi1EEEESE_SE_Li2ELi16ELi16ELb0ELi0ELi1ELi1ENSC_IJLi1ELi16ELi1ELi16EEEELi4ELNS_26BlockGemmPipelineSchedulerE0ELNS_24BlockGemmPipelineVersionE2EDF16_DF16_Lb0ELb1EEELb1ELNS_25InMemoryDataOperationEnumE0ELi2ELNS_10TailNumberE10EEEvNT_8ArgumentE.num_named_barrier, 0
	.set _ZN2ck27kernel_gemm_xdl_cshuffle_v3INS_28GridwiseGemm_xdl_cshuffle_v3INS_13tensor_layout4gemm8RowMajorENS3_11ColumnMajorES4_DF16_NS_7pk_i4_tEfDF16_DF16_NS_16tensor_operation12element_wise11PassThroughES9_S9_LNS7_6device18GemmSpecializationE0ELi256ELi1ELi128ELi128ELi128ELi64ELi8ELi16ELi16ELi16ELi8ELi1ENS_8SequenceIJLi8ELi32ELi1EEEENSC_IJLi1ELi0ELi2EEEESE_Li2ELi8ELi8ELb0ELi0ENSC_IJLi2ELi128ELi1EEEESE_SE_Li2ELi16ELi16ELb0ELi0ELi1ELi1ENSC_IJLi1ELi16ELi1ELi16EEEELi4ELNS_26BlockGemmPipelineSchedulerE0ELNS_24BlockGemmPipelineVersionE2EDF16_DF16_Lb0ELb1EEELb1ELNS_25InMemoryDataOperationEnumE0ELi2ELNS_10TailNumberE10EEEvNT_8ArgumentE.private_seg_size, 0
	.set _ZN2ck27kernel_gemm_xdl_cshuffle_v3INS_28GridwiseGemm_xdl_cshuffle_v3INS_13tensor_layout4gemm8RowMajorENS3_11ColumnMajorES4_DF16_NS_7pk_i4_tEfDF16_DF16_NS_16tensor_operation12element_wise11PassThroughES9_S9_LNS7_6device18GemmSpecializationE0ELi256ELi1ELi128ELi128ELi128ELi64ELi8ELi16ELi16ELi16ELi8ELi1ENS_8SequenceIJLi8ELi32ELi1EEEENSC_IJLi1ELi0ELi2EEEESE_Li2ELi8ELi8ELb0ELi0ENSC_IJLi2ELi128ELi1EEEESE_SE_Li2ELi16ELi16ELb0ELi0ELi1ELi1ENSC_IJLi1ELi16ELi1ELi16EEEELi4ELNS_26BlockGemmPipelineSchedulerE0ELNS_24BlockGemmPipelineVersionE2EDF16_DF16_Lb0ELb1EEELb1ELNS_25InMemoryDataOperationEnumE0ELi2ELNS_10TailNumberE10EEEvNT_8ArgumentE.uses_vcc, 0
	.set _ZN2ck27kernel_gemm_xdl_cshuffle_v3INS_28GridwiseGemm_xdl_cshuffle_v3INS_13tensor_layout4gemm8RowMajorENS3_11ColumnMajorES4_DF16_NS_7pk_i4_tEfDF16_DF16_NS_16tensor_operation12element_wise11PassThroughES9_S9_LNS7_6device18GemmSpecializationE0ELi256ELi1ELi128ELi128ELi128ELi64ELi8ELi16ELi16ELi16ELi8ELi1ENS_8SequenceIJLi8ELi32ELi1EEEENSC_IJLi1ELi0ELi2EEEESE_Li2ELi8ELi8ELb0ELi0ENSC_IJLi2ELi128ELi1EEEESE_SE_Li2ELi16ELi16ELb0ELi0ELi1ELi1ENSC_IJLi1ELi16ELi1ELi16EEEELi4ELNS_26BlockGemmPipelineSchedulerE0ELNS_24BlockGemmPipelineVersionE2EDF16_DF16_Lb0ELb1EEELb1ELNS_25InMemoryDataOperationEnumE0ELi2ELNS_10TailNumberE10EEEvNT_8ArgumentE.uses_flat_scratch, 0
	.set _ZN2ck27kernel_gemm_xdl_cshuffle_v3INS_28GridwiseGemm_xdl_cshuffle_v3INS_13tensor_layout4gemm8RowMajorENS3_11ColumnMajorES4_DF16_NS_7pk_i4_tEfDF16_DF16_NS_16tensor_operation12element_wise11PassThroughES9_S9_LNS7_6device18GemmSpecializationE0ELi256ELi1ELi128ELi128ELi128ELi64ELi8ELi16ELi16ELi16ELi8ELi1ENS_8SequenceIJLi8ELi32ELi1EEEENSC_IJLi1ELi0ELi2EEEESE_Li2ELi8ELi8ELb0ELi0ENSC_IJLi2ELi128ELi1EEEESE_SE_Li2ELi16ELi16ELb0ELi0ELi1ELi1ENSC_IJLi1ELi16ELi1ELi16EEEELi4ELNS_26BlockGemmPipelineSchedulerE0ELNS_24BlockGemmPipelineVersionE2EDF16_DF16_Lb0ELb1EEELb1ELNS_25InMemoryDataOperationEnumE0ELi2ELNS_10TailNumberE10EEEvNT_8ArgumentE.has_dyn_sized_stack, 0
	.set _ZN2ck27kernel_gemm_xdl_cshuffle_v3INS_28GridwiseGemm_xdl_cshuffle_v3INS_13tensor_layout4gemm8RowMajorENS3_11ColumnMajorES4_DF16_NS_7pk_i4_tEfDF16_DF16_NS_16tensor_operation12element_wise11PassThroughES9_S9_LNS7_6device18GemmSpecializationE0ELi256ELi1ELi128ELi128ELi128ELi64ELi8ELi16ELi16ELi16ELi8ELi1ENS_8SequenceIJLi8ELi32ELi1EEEENSC_IJLi1ELi0ELi2EEEESE_Li2ELi8ELi8ELb0ELi0ENSC_IJLi2ELi128ELi1EEEESE_SE_Li2ELi16ELi16ELb0ELi0ELi1ELi1ENSC_IJLi1ELi16ELi1ELi16EEEELi4ELNS_26BlockGemmPipelineSchedulerE0ELNS_24BlockGemmPipelineVersionE2EDF16_DF16_Lb0ELb1EEELb1ELNS_25InMemoryDataOperationEnumE0ELi2ELNS_10TailNumberE10EEEvNT_8ArgumentE.has_recursion, 0
	.set _ZN2ck27kernel_gemm_xdl_cshuffle_v3INS_28GridwiseGemm_xdl_cshuffle_v3INS_13tensor_layout4gemm8RowMajorENS3_11ColumnMajorES4_DF16_NS_7pk_i4_tEfDF16_DF16_NS_16tensor_operation12element_wise11PassThroughES9_S9_LNS7_6device18GemmSpecializationE0ELi256ELi1ELi128ELi128ELi128ELi64ELi8ELi16ELi16ELi16ELi8ELi1ENS_8SequenceIJLi8ELi32ELi1EEEENSC_IJLi1ELi0ELi2EEEESE_Li2ELi8ELi8ELb0ELi0ENSC_IJLi2ELi128ELi1EEEESE_SE_Li2ELi16ELi16ELb0ELi0ELi1ELi1ENSC_IJLi1ELi16ELi1ELi16EEEELi4ELNS_26BlockGemmPipelineSchedulerE0ELNS_24BlockGemmPipelineVersionE2EDF16_DF16_Lb0ELb1EEELb1ELNS_25InMemoryDataOperationEnumE0ELi2ELNS_10TailNumberE10EEEvNT_8ArgumentE.has_indirect_call, 0
	.section	.AMDGPU.csdata,"",@progbits
; Kernel info:
; codeLenInByte = 4
; TotalNumSgprs: 6
; NumVgprs: 0
; NumAgprs: 0
; TotalNumVgprs: 0
; ScratchSize: 0
; MemoryBound: 0
; FloatMode: 240
; IeeeMode: 1
; LDSByteSize: 0 bytes/workgroup (compile time only)
; SGPRBlocks: 0
; VGPRBlocks: 0
; NumSGPRsForWavesPerEU: 6
; NumVGPRsForWavesPerEU: 1
; AccumOffset: 4
; Occupancy: 8
; WaveLimiterHint : 0
; COMPUTE_PGM_RSRC2:SCRATCH_EN: 0
; COMPUTE_PGM_RSRC2:USER_SGPR: 2
; COMPUTE_PGM_RSRC2:TRAP_HANDLER: 0
; COMPUTE_PGM_RSRC2:TGID_X_EN: 1
; COMPUTE_PGM_RSRC2:TGID_Y_EN: 0
; COMPUTE_PGM_RSRC2:TGID_Z_EN: 0
; COMPUTE_PGM_RSRC2:TIDIG_COMP_CNT: 0
; COMPUTE_PGM_RSRC3_GFX90A:ACCUM_OFFSET: 0
; COMPUTE_PGM_RSRC3_GFX90A:TG_SPLIT: 0
	.section	.AMDGPU.gpr_maximums,"",@progbits
	.set amdgpu.max_num_vgpr, 0
	.set amdgpu.max_num_agpr, 0
	.set amdgpu.max_num_sgpr, 0
	.section	.AMDGPU.csdata,"",@progbits
	.type	__hip_cuid_5da1dfac6bd0e4d,@object ; @__hip_cuid_5da1dfac6bd0e4d
	.section	.bss,"aw",@nobits
	.globl	__hip_cuid_5da1dfac6bd0e4d
__hip_cuid_5da1dfac6bd0e4d:
	.byte	0                               ; 0x0
	.size	__hip_cuid_5da1dfac6bd0e4d, 1

	.ident	"AMD clang version 22.0.0git (https://github.com/RadeonOpenCompute/llvm-project roc-7.2.4 26084 f58b06dce1f9c15707c5f808fd002e18c2accf7e)"
	.section	".note.GNU-stack","",@progbits
	.addrsig
	.addrsig_sym __hip_cuid_5da1dfac6bd0e4d
	.amdgpu_metadata
---
amdhsa.kernels:
  - .agpr_count:     0
    .args:           []
    .group_segment_fixed_size: 0
    .kernarg_segment_align: 4
    .kernarg_segment_size: 0
    .language:       OpenCL C
    .language_version:
      - 2
      - 0
    .max_flat_workgroup_size: 1024
    .name:           _ZN2ckL12flush_icacheEv
    .private_segment_fixed_size: 0
    .sgpr_count:     6
    .sgpr_spill_count: 0
    .symbol:         _ZN2ckL12flush_icacheEv.kd
    .uniform_work_group_size: 1
    .uses_dynamic_stack: false
    .vgpr_count:     0
    .vgpr_spill_count: 0
    .wavefront_size: 64
  - .agpr_count:     0
    .args:
      - .offset:         0
        .size:           120
        .value_kind:     by_value
    .group_segment_fixed_size: 20480
    .kernarg_segment_align: 8
    .kernarg_segment_size: 120
    .language:       OpenCL C
    .language_version:
      - 2
      - 0
    .max_flat_workgroup_size: 256
    .name:           _ZN2ck27kernel_gemm_xdl_cshuffle_v3INS_28GridwiseGemm_xdl_cshuffle_v3INS_13tensor_layout4gemm8RowMajorENS3_11ColumnMajorES4_DF16_NS_7pk_i4_tEfDF16_DF16_NS_16tensor_operation12element_wise11PassThroughES9_S9_LNS7_6device18GemmSpecializationE0ELi256ELi1ELi128ELi128ELi128ELi64ELi8ELi16ELi16ELi16ELi8ELi2ENS_8SequenceIJLi8ELi32ELi1EEEENSC_IJLi1ELi0ELi2EEEESE_Li2ELi8ELi8ELb0ELi0ENSC_IJLi2ELi128ELi1EEEESE_SE_Li2ELi16ELi16ELb0ELi0ELi1ELi1ENSC_IJLi1ELi16ELi1ELi16EEEELi4ELNS_26BlockGemmPipelineSchedulerE0ELNS_24BlockGemmPipelineVersionE2EDF16_DF16_Lb0ELb1EEELb1ELNS_25InMemoryDataOperationEnumE1ELi2ELNS_10TailNumberE10EEEvNT_8ArgumentE
    .private_segment_fixed_size: 0
    .sgpr_count:     42
    .sgpr_spill_count: 0
    .symbol:         _ZN2ck27kernel_gemm_xdl_cshuffle_v3INS_28GridwiseGemm_xdl_cshuffle_v3INS_13tensor_layout4gemm8RowMajorENS3_11ColumnMajorES4_DF16_NS_7pk_i4_tEfDF16_DF16_NS_16tensor_operation12element_wise11PassThroughES9_S9_LNS7_6device18GemmSpecializationE0ELi256ELi1ELi128ELi128ELi128ELi64ELi8ELi16ELi16ELi16ELi8ELi2ENS_8SequenceIJLi8ELi32ELi1EEEENSC_IJLi1ELi0ELi2EEEESE_Li2ELi8ELi8ELb0ELi0ENSC_IJLi2ELi128ELi1EEEESE_SE_Li2ELi16ELi16ELb0ELi0ELi1ELi1ENSC_IJLi1ELi16ELi1ELi16EEEELi4ELNS_26BlockGemmPipelineSchedulerE0ELNS_24BlockGemmPipelineVersionE2EDF16_DF16_Lb0ELb1EEELb1ELNS_25InMemoryDataOperationEnumE1ELi2ELNS_10TailNumberE10EEEvNT_8ArgumentE.kd
    .uniform_work_group_size: 1
    .uses_dynamic_stack: false
    .vgpr_count:     205
    .vgpr_spill_count: 0
    .wavefront_size: 64
  - .agpr_count:     0
    .args:
      - .offset:         0
        .size:           120
        .value_kind:     by_value
    .group_segment_fixed_size: 20480
    .kernarg_segment_align: 8
    .kernarg_segment_size: 120
    .language:       OpenCL C
    .language_version:
      - 2
      - 0
    .max_flat_workgroup_size: 256
    .name:           _ZN2ck27kernel_gemm_xdl_cshuffle_v3INS_28GridwiseGemm_xdl_cshuffle_v3INS_13tensor_layout4gemm8RowMajorENS3_11ColumnMajorES4_DF16_NS_7pk_i4_tEfDF16_DF16_NS_16tensor_operation12element_wise11PassThroughES9_S9_LNS7_6device18GemmSpecializationE0ELi256ELi1ELi128ELi128ELi128ELi64ELi8ELi16ELi16ELi16ELi8ELi2ENS_8SequenceIJLi8ELi32ELi1EEEENSC_IJLi1ELi0ELi2EEEESE_Li2ELi8ELi8ELb0ELi0ENSC_IJLi2ELi128ELi1EEEESE_SE_Li2ELi16ELi16ELb0ELi0ELi1ELi1ENSC_IJLi1ELi16ELi1ELi16EEEELi4ELNS_26BlockGemmPipelineSchedulerE0ELNS_24BlockGemmPipelineVersionE2EDF16_DF16_Lb0ELb1EEELb1ELNS_25InMemoryDataOperationEnumE0ELi2ELNS_10TailNumberE10EEEvNT_8ArgumentE
    .private_segment_fixed_size: 0
    .sgpr_count:     42
    .sgpr_spill_count: 0
    .symbol:         _ZN2ck27kernel_gemm_xdl_cshuffle_v3INS_28GridwiseGemm_xdl_cshuffle_v3INS_13tensor_layout4gemm8RowMajorENS3_11ColumnMajorES4_DF16_NS_7pk_i4_tEfDF16_DF16_NS_16tensor_operation12element_wise11PassThroughES9_S9_LNS7_6device18GemmSpecializationE0ELi256ELi1ELi128ELi128ELi128ELi64ELi8ELi16ELi16ELi16ELi8ELi2ENS_8SequenceIJLi8ELi32ELi1EEEENSC_IJLi1ELi0ELi2EEEESE_Li2ELi8ELi8ELb0ELi0ENSC_IJLi2ELi128ELi1EEEESE_SE_Li2ELi16ELi16ELb0ELi0ELi1ELi1ENSC_IJLi1ELi16ELi1ELi16EEEELi4ELNS_26BlockGemmPipelineSchedulerE0ELNS_24BlockGemmPipelineVersionE2EDF16_DF16_Lb0ELb1EEELb1ELNS_25InMemoryDataOperationEnumE0ELi2ELNS_10TailNumberE10EEEvNT_8ArgumentE.kd
    .uniform_work_group_size: 1
    .uses_dynamic_stack: false
    .vgpr_count:     205
    .vgpr_spill_count: 0
    .wavefront_size: 64
  - .agpr_count:     0
    .args:
      - .offset:         0
        .size:           120
        .value_kind:     by_value
    .group_segment_fixed_size: 0
    .kernarg_segment_align: 8
    .kernarg_segment_size: 120
    .language:       OpenCL C
    .language_version:
      - 2
      - 0
    .max_flat_workgroup_size: 256
    .name:           _ZN2ck27kernel_gemm_xdl_cshuffle_v3INS_28GridwiseGemm_xdl_cshuffle_v3INS_13tensor_layout4gemm8RowMajorENS3_11ColumnMajorES4_DF16_NS_7pk_i4_tEfDF16_DF16_NS_16tensor_operation12element_wise11PassThroughES9_S9_LNS7_6device18GemmSpecializationE0ELi256ELi1ELi128ELi128ELi128ELi64ELi8ELi16ELi16ELi16ELi8ELi1ENS_8SequenceIJLi8ELi32ELi1EEEENSC_IJLi1ELi0ELi2EEEESE_Li2ELi8ELi8ELb0ELi0ENSC_IJLi2ELi128ELi1EEEESE_SE_Li2ELi16ELi16ELb0ELi0ELi1ELi1ENSC_IJLi1ELi16ELi1ELi16EEEELi4ELNS_26BlockGemmPipelineSchedulerE0ELNS_24BlockGemmPipelineVersionE2EDF16_DF16_Lb0ELb1EEELb1ELNS_25InMemoryDataOperationEnumE1ELi2ELNS_10TailNumberE10EEEvNT_8ArgumentE
    .private_segment_fixed_size: 0
    .sgpr_count:     6
    .sgpr_spill_count: 0
    .symbol:         _ZN2ck27kernel_gemm_xdl_cshuffle_v3INS_28GridwiseGemm_xdl_cshuffle_v3INS_13tensor_layout4gemm8RowMajorENS3_11ColumnMajorES4_DF16_NS_7pk_i4_tEfDF16_DF16_NS_16tensor_operation12element_wise11PassThroughES9_S9_LNS7_6device18GemmSpecializationE0ELi256ELi1ELi128ELi128ELi128ELi64ELi8ELi16ELi16ELi16ELi8ELi1ENS_8SequenceIJLi8ELi32ELi1EEEENSC_IJLi1ELi0ELi2EEEESE_Li2ELi8ELi8ELb0ELi0ENSC_IJLi2ELi128ELi1EEEESE_SE_Li2ELi16ELi16ELb0ELi0ELi1ELi1ENSC_IJLi1ELi16ELi1ELi16EEEELi4ELNS_26BlockGemmPipelineSchedulerE0ELNS_24BlockGemmPipelineVersionE2EDF16_DF16_Lb0ELb1EEELb1ELNS_25InMemoryDataOperationEnumE1ELi2ELNS_10TailNumberE10EEEvNT_8ArgumentE.kd
    .uniform_work_group_size: 1
    .uses_dynamic_stack: false
    .vgpr_count:     0
    .vgpr_spill_count: 0
    .wavefront_size: 64
  - .agpr_count:     0
    .args:
      - .offset:         0
        .size:           120
        .value_kind:     by_value
    .group_segment_fixed_size: 0
    .kernarg_segment_align: 8
    .kernarg_segment_size: 120
    .language:       OpenCL C
    .language_version:
      - 2
      - 0
    .max_flat_workgroup_size: 256
    .name:           _ZN2ck27kernel_gemm_xdl_cshuffle_v3INS_28GridwiseGemm_xdl_cshuffle_v3INS_13tensor_layout4gemm8RowMajorENS3_11ColumnMajorES4_DF16_NS_7pk_i4_tEfDF16_DF16_NS_16tensor_operation12element_wise11PassThroughES9_S9_LNS7_6device18GemmSpecializationE0ELi256ELi1ELi128ELi128ELi128ELi64ELi8ELi16ELi16ELi16ELi8ELi1ENS_8SequenceIJLi8ELi32ELi1EEEENSC_IJLi1ELi0ELi2EEEESE_Li2ELi8ELi8ELb0ELi0ENSC_IJLi2ELi128ELi1EEEESE_SE_Li2ELi16ELi16ELb0ELi0ELi1ELi1ENSC_IJLi1ELi16ELi1ELi16EEEELi4ELNS_26BlockGemmPipelineSchedulerE0ELNS_24BlockGemmPipelineVersionE2EDF16_DF16_Lb0ELb1EEELb1ELNS_25InMemoryDataOperationEnumE0ELi2ELNS_10TailNumberE10EEEvNT_8ArgumentE
    .private_segment_fixed_size: 0
    .sgpr_count:     6
    .sgpr_spill_count: 0
    .symbol:         _ZN2ck27kernel_gemm_xdl_cshuffle_v3INS_28GridwiseGemm_xdl_cshuffle_v3INS_13tensor_layout4gemm8RowMajorENS3_11ColumnMajorES4_DF16_NS_7pk_i4_tEfDF16_DF16_NS_16tensor_operation12element_wise11PassThroughES9_S9_LNS7_6device18GemmSpecializationE0ELi256ELi1ELi128ELi128ELi128ELi64ELi8ELi16ELi16ELi16ELi8ELi1ENS_8SequenceIJLi8ELi32ELi1EEEENSC_IJLi1ELi0ELi2EEEESE_Li2ELi8ELi8ELb0ELi0ENSC_IJLi2ELi128ELi1EEEESE_SE_Li2ELi16ELi16ELb0ELi0ELi1ELi1ENSC_IJLi1ELi16ELi1ELi16EEEELi4ELNS_26BlockGemmPipelineSchedulerE0ELNS_24BlockGemmPipelineVersionE2EDF16_DF16_Lb0ELb1EEELb1ELNS_25InMemoryDataOperationEnumE0ELi2ELNS_10TailNumberE10EEEvNT_8ArgumentE.kd
    .uniform_work_group_size: 1
    .uses_dynamic_stack: false
    .vgpr_count:     0
    .vgpr_spill_count: 0
    .wavefront_size: 64
amdhsa.target:   amdgcn-amd-amdhsa--gfx950
amdhsa.version:
  - 1
  - 2
...

	.end_amdgpu_metadata
